;; amdgpu-corpus repo=ROCm/hip-tests kind=compiled arch=gfx90a opt=O3
	.text
	.amdgcn_target "amdgcn-amd-amdhsa--gfx90a"
	.amdhsa_code_object_version 6
	.p2align	2                               ; -- Begin function __ockl_printf_append_args
	.type	__ockl_printf_append_args,@function
__ockl_printf_append_args:              ; @__ockl_printf_append_args
; %bb.0:
	s_waitcnt vmcnt(0) expcnt(0) lgkmcnt(0)
	s_load_dwordx2 s[6:7], s[8:9], 0x50
	v_mbcnt_lo_u32_b32 v5, -1, 0
	v_mbcnt_hi_u32_b32 v5, -1, v5
	v_readfirstlane_b32 s4, v5
	v_cmp_eq_u32_e64 s[4:5], s4, v5
	v_pk_mov_b32 v[10:11], 0, 0
	s_and_saveexec_b64 s[8:9], s[4:5]
	s_cbranch_execz .LBB0_6
; %bb.1:
	v_mov_b32_e32 v6, 0
	s_waitcnt lgkmcnt(0)
	global_load_dwordx2 v[12:13], v6, s[6:7] offset:24 glc
	s_waitcnt vmcnt(0)
	buffer_invl2
	buffer_wbinvl1_vol
	global_load_dwordx2 v[8:9], v6, s[6:7] offset:40
	global_load_dwordx2 v[10:11], v6, s[6:7]
	s_waitcnt vmcnt(1)
	v_and_b32_e32 v7, v8, v12
	v_and_b32_e32 v8, v9, v13
	v_mul_lo_u32 v8, v8, 24
	v_mul_hi_u32 v9, v7, 24
	v_mul_lo_u32 v7, v7, 24
	v_add_u32_e32 v9, v9, v8
	s_waitcnt vmcnt(0)
	v_add_co_u32_e32 v8, vcc, v10, v7
	v_addc_co_u32_e32 v9, vcc, v11, v9, vcc
	global_load_dwordx2 v[10:11], v[8:9], off glc
	s_waitcnt vmcnt(0)
	global_atomic_cmpswap_x2 v[10:11], v6, v[10:13], s[6:7] offset:24 glc
	s_waitcnt vmcnt(0)
	buffer_invl2
	buffer_wbinvl1_vol
	v_cmp_ne_u64_e32 vcc, v[10:11], v[12:13]
	s_and_saveexec_b64 s[10:11], vcc
	s_cbranch_execz .LBB0_5
; %bb.2:
	s_mov_b64 s[12:13], 0
.LBB0_3:                                ; =>This Inner Loop Header: Depth=1
	s_sleep 1
	global_load_dwordx2 v[8:9], v6, s[6:7] offset:40
	global_load_dwordx2 v[14:15], v6, s[6:7]
	v_pk_mov_b32 v[12:13], v[10:11], v[10:11] op_sel:[0,1]
	s_waitcnt vmcnt(1)
	v_and_b32_e32 v8, v8, v12
	v_and_b32_e32 v7, v9, v13
	s_waitcnt vmcnt(0)
	v_mad_u64_u32 v[8:9], s[14:15], v8, 24, v[14:15]
	v_mov_b32_e32 v10, v9
	v_mad_u64_u32 v[10:11], s[14:15], v7, 24, v[10:11]
	v_mov_b32_e32 v9, v10
	global_load_dwordx2 v[10:11], v[8:9], off glc
	s_waitcnt vmcnt(0)
	global_atomic_cmpswap_x2 v[10:11], v6, v[10:13], s[6:7] offset:24 glc
	s_waitcnt vmcnt(0)
	buffer_invl2
	buffer_wbinvl1_vol
	v_cmp_eq_u64_e32 vcc, v[10:11], v[12:13]
	s_or_b64 s[12:13], vcc, s[12:13]
	s_andn2_b64 exec, exec, s[12:13]
	s_cbranch_execnz .LBB0_3
; %bb.4:
	s_or_b64 exec, exec, s[12:13]
.LBB0_5:
	s_or_b64 exec, exec, s[10:11]
.LBB0_6:
	s_or_b64 exec, exec, s[8:9]
	v_mov_b32_e32 v14, 0
	s_waitcnt lgkmcnt(0)
	global_load_dwordx2 v[12:13], v14, s[6:7] offset:40
	global_load_dwordx4 v[6:9], v14, s[6:7]
	v_readfirstlane_b32 s8, v10
	v_readfirstlane_b32 s9, v11
	s_mov_b64 s[10:11], exec
	s_waitcnt vmcnt(1)
	v_readfirstlane_b32 s12, v12
	v_readfirstlane_b32 s13, v13
	s_and_b64 s[12:13], s[8:9], s[12:13]
	s_mul_i32 s14, s13, 24
	s_mul_hi_u32 s15, s12, 24
	s_mul_i32 s16, s12, 24
	s_add_i32 s14, s15, s14
	v_mov_b32_e32 v11, s14
	s_waitcnt vmcnt(0)
	v_add_co_u32_e32 v10, vcc, s16, v6
	v_addc_co_u32_e32 v11, vcc, v7, v11, vcc
	s_and_saveexec_b64 s[14:15], s[4:5]
	s_cbranch_execz .LBB0_8
; %bb.7:
	v_pk_mov_b32 v[12:13], s[10:11], s[10:11] op_sel:[0,1]
	v_mov_b32_e32 v14, 2
	v_mov_b32_e32 v15, 1
	global_store_dwordx4 v[10:11], v[12:15], off offset:8
.LBB0_8:
	s_or_b64 exec, exec, s[14:15]
	s_lshl_b64 s[10:11], s[12:13], 12
	v_mov_b32_e32 v12, s11
	v_add_co_u32_e32 v8, vcc, s10, v8
	v_addc_co_u32_e32 v9, vcc, v9, v12, vcc
	v_or_b32_e32 v12, 2, v0
	v_cmp_eq_u32_e32 vcc, 0, v4
	s_mov_b32 s12, 0
	v_cndmask_b32_e32 v0, v12, v0, vcc
	s_movk_i32 s10, 0xff1f
	v_and_or_b32 v0, v0, s10, 32
	v_lshlrev_b32_e32 v12, 6, v5
	v_readfirstlane_b32 s10, v8
	v_readfirstlane_b32 s11, v9
	s_mov_b32 s13, s12
	v_add_co_u32_e32 v4, vcc, v8, v12
	s_mov_b32 s14, s12
	s_mov_b32 s15, s12
	s_nop 0
	global_store_dwordx4 v12, v[0:3], s[10:11]
	v_addc_co_u32_e32 v5, vcc, 0, v9, vcc
	v_pk_mov_b32 v[0:1], s[12:13], s[12:13] op_sel:[0,1]
	v_pk_mov_b32 v[2:3], s[14:15], s[14:15] op_sel:[0,1]
	global_store_dwordx4 v12, v[0:3], s[10:11] offset:16
	global_store_dwordx4 v12, v[0:3], s[10:11] offset:32
	;; [unrolled: 1-line block ×3, first 2 shown]
	s_and_saveexec_b64 s[10:11], s[4:5]
	s_cbranch_execz .LBB0_16
; %bb.9:
	v_mov_b32_e32 v8, 0
	global_load_dwordx2 v[14:15], v8, s[6:7] offset:32 glc
	global_load_dwordx2 v[0:1], v8, s[6:7] offset:40
	v_mov_b32_e32 v12, s8
	v_mov_b32_e32 v13, s9
	s_waitcnt vmcnt(0)
	v_and_b32_e32 v0, s8, v0
	v_and_b32_e32 v1, s9, v1
	v_mul_lo_u32 v1, v1, 24
	v_mul_hi_u32 v2, v0, 24
	v_mul_lo_u32 v0, v0, 24
	v_add_u32_e32 v1, v2, v1
	v_add_co_u32_e32 v6, vcc, v6, v0
	v_addc_co_u32_e32 v7, vcc, v7, v1, vcc
	global_store_dwordx2 v[6:7], v[14:15], off
	buffer_wbl2
	s_waitcnt vmcnt(0)
	global_atomic_cmpswap_x2 v[2:3], v8, v[12:15], s[6:7] offset:32 glc
	s_waitcnt vmcnt(0)
	v_cmp_ne_u64_e32 vcc, v[2:3], v[14:15]
	s_and_saveexec_b64 s[12:13], vcc
	s_cbranch_execz .LBB0_12
; %bb.10:
	s_mov_b64 s[14:15], 0
.LBB0_11:                               ; =>This Inner Loop Header: Depth=1
	s_sleep 1
	global_store_dwordx2 v[6:7], v[2:3], off
	v_mov_b32_e32 v0, s8
	v_mov_b32_e32 v1, s9
	buffer_wbl2
	s_waitcnt vmcnt(0)
	global_atomic_cmpswap_x2 v[0:1], v8, v[0:3], s[6:7] offset:32 glc
	s_waitcnt vmcnt(0)
	v_cmp_eq_u64_e32 vcc, v[0:1], v[2:3]
	s_or_b64 s[14:15], vcc, s[14:15]
	v_pk_mov_b32 v[2:3], v[0:1], v[0:1] op_sel:[0,1]
	s_andn2_b64 exec, exec, s[14:15]
	s_cbranch_execnz .LBB0_11
.LBB0_12:
	s_or_b64 exec, exec, s[12:13]
	v_mov_b32_e32 v3, 0
	global_load_dwordx2 v[0:1], v3, s[6:7] offset:16
	s_mov_b64 s[12:13], exec
	v_mbcnt_lo_u32_b32 v2, s12, 0
	v_mbcnt_hi_u32_b32 v2, s13, v2
	v_cmp_eq_u32_e32 vcc, 0, v2
	s_and_saveexec_b64 s[14:15], vcc
	s_cbranch_execz .LBB0_14
; %bb.13:
	s_bcnt1_i32_b64 s12, s[12:13]
	v_mov_b32_e32 v2, s12
	buffer_wbl2
	s_waitcnt vmcnt(0)
	global_atomic_add_x2 v[0:1], v[2:3], off offset:8
.LBB0_14:
	s_or_b64 exec, exec, s[14:15]
	s_waitcnt vmcnt(0)
	global_load_dwordx2 v[2:3], v[0:1], off offset:16
	s_waitcnt vmcnt(0)
	v_cmp_eq_u64_e32 vcc, 0, v[2:3]
	s_cbranch_vccnz .LBB0_16
; %bb.15:
	global_load_dword v0, v[0:1], off offset:24
	v_mov_b32_e32 v1, 0
	buffer_wbl2
	s_waitcnt vmcnt(0)
	global_store_dwordx2 v[2:3], v[0:1], off
	v_and_b32_e32 v0, 0xffffff, v0
	v_readfirstlane_b32 m0, v0
	s_sendmsg sendmsg(MSG_INTERRUPT)
.LBB0_16:
	s_or_b64 exec, exec, s[10:11]
	s_branch .LBB0_20
.LBB0_17:                               ;   in Loop: Header=BB0_20 Depth=1
	s_or_b64 exec, exec, s[10:11]
	v_readfirstlane_b32 s10, v0
	s_cmp_eq_u32 s10, 0
	s_cbranch_scc1 .LBB0_19
; %bb.18:                               ;   in Loop: Header=BB0_20 Depth=1
	s_sleep 1
	s_cbranch_execnz .LBB0_20
	s_branch .LBB0_22
.LBB0_19:
	s_branch .LBB0_22
.LBB0_20:                               ; =>This Inner Loop Header: Depth=1
	v_mov_b32_e32 v0, 1
	s_and_saveexec_b64 s[10:11], s[4:5]
	s_cbranch_execz .LBB0_17
; %bb.21:                               ;   in Loop: Header=BB0_20 Depth=1
	global_load_dword v0, v[10:11], off offset:20 glc
	s_waitcnt vmcnt(0)
	buffer_invl2
	buffer_wbinvl1_vol
	v_and_b32_e32 v0, 1, v0
	s_branch .LBB0_17
.LBB0_22:
	global_load_dwordx2 v[0:1], v[4:5], off
	s_and_saveexec_b64 s[10:11], s[4:5]
	s_cbranch_execz .LBB0_25
; %bb.23:
	v_mov_b32_e32 v8, 0
	global_load_dwordx2 v[6:7], v8, s[6:7] offset:40
	global_load_dwordx2 v[10:11], v8, s[6:7] offset:24 glc
	global_load_dwordx2 v[12:13], v8, s[6:7]
	v_mov_b32_e32 v3, s9
	s_mov_b64 s[4:5], 0
	s_waitcnt vmcnt(2)
	v_add_co_u32_e32 v5, vcc, 1, v6
	v_addc_co_u32_e32 v9, vcc, 0, v7, vcc
	v_add_co_u32_e32 v2, vcc, s8, v5
	v_addc_co_u32_e32 v3, vcc, v9, v3, vcc
	v_cmp_eq_u64_e32 vcc, 0, v[2:3]
	v_cndmask_b32_e32 v3, v3, v9, vcc
	v_cndmask_b32_e32 v2, v2, v5, vcc
	v_and_b32_e32 v5, v3, v7
	v_and_b32_e32 v6, v2, v6
	v_mul_lo_u32 v5, v5, 24
	v_mul_hi_u32 v7, v6, 24
	v_mul_lo_u32 v6, v6, 24
	v_add_u32_e32 v5, v7, v5
	s_waitcnt vmcnt(0)
	v_add_co_u32_e32 v6, vcc, v12, v6
	v_addc_co_u32_e32 v7, vcc, v13, v5, vcc
	v_mov_b32_e32 v4, v10
	global_store_dwordx2 v[6:7], v[10:11], off
	v_mov_b32_e32 v5, v11
	buffer_wbl2
	s_waitcnt vmcnt(0)
	global_atomic_cmpswap_x2 v[4:5], v8, v[2:5], s[6:7] offset:24 glc
	s_waitcnt vmcnt(0)
	v_cmp_ne_u64_e32 vcc, v[4:5], v[10:11]
	s_and_b64 exec, exec, vcc
	s_cbranch_execz .LBB0_25
.LBB0_24:                               ; =>This Inner Loop Header: Depth=1
	s_sleep 1
	global_store_dwordx2 v[6:7], v[4:5], off
	buffer_wbl2
	s_waitcnt vmcnt(0)
	global_atomic_cmpswap_x2 v[10:11], v8, v[2:5], s[6:7] offset:24 glc
	s_waitcnt vmcnt(0)
	v_cmp_eq_u64_e32 vcc, v[10:11], v[4:5]
	s_or_b64 s[4:5], vcc, s[4:5]
	v_pk_mov_b32 v[4:5], v[10:11], v[10:11] op_sel:[0,1]
	s_andn2_b64 exec, exec, s[4:5]
	s_cbranch_execnz .LBB0_24
.LBB0_25:
	s_or_b64 exec, exec, s[10:11]
	s_waitcnt vmcnt(0) lgkmcnt(0)
	s_setpc_b64 s[30:31]
.Lfunc_end0:
	.size	__ockl_printf_append_args, .Lfunc_end0-__ockl_printf_append_args
                                        ; -- End function
	.section	.AMDGPU.csdata,"",@progbits
; Function info:
; codeLenInByte = 1296
; NumSgprs: 36
; NumVgprs: 16
; NumAgprs: 0
; TotalNumVgprs: 16
; ScratchSize: 0
; MemoryBound: 0
	.text
	.p2align	2                               ; -- Begin function __ockl_printf_begin
	.type	__ockl_printf_begin,@function
__ockl_printf_begin:                    ; @__ockl_printf_begin
; %bb.0:
	s_waitcnt vmcnt(0) expcnt(0) lgkmcnt(0)
	s_load_dwordx2 s[6:7], s[8:9], 0x50
	v_mbcnt_lo_u32_b32 v0, -1, 0
	v_mbcnt_hi_u32_b32 v4, -1, v0
	v_readfirstlane_b32 s4, v4
	v_cmp_eq_u32_e64 s[4:5], s4, v4
	v_pk_mov_b32 v[6:7], 0, 0
	s_and_saveexec_b64 s[8:9], s[4:5]
	s_cbranch_execz .LBB1_6
; %bb.1:
	v_mov_b32_e32 v0, 0
	s_waitcnt lgkmcnt(0)
	global_load_dwordx2 v[8:9], v0, s[6:7] offset:24 glc
	s_waitcnt vmcnt(0)
	buffer_invl2
	buffer_wbinvl1_vol
	global_load_dwordx2 v[2:3], v0, s[6:7] offset:40
	global_load_dwordx2 v[6:7], v0, s[6:7]
	s_waitcnt vmcnt(1)
	v_and_b32_e32 v1, v2, v8
	v_and_b32_e32 v2, v3, v9
	v_mul_lo_u32 v2, v2, 24
	v_mul_hi_u32 v3, v1, 24
	v_mul_lo_u32 v1, v1, 24
	v_add_u32_e32 v3, v3, v2
	s_waitcnt vmcnt(0)
	v_add_co_u32_e32 v2, vcc, v6, v1
	v_addc_co_u32_e32 v3, vcc, v7, v3, vcc
	global_load_dwordx2 v[6:7], v[2:3], off glc
	s_waitcnt vmcnt(0)
	global_atomic_cmpswap_x2 v[6:7], v0, v[6:9], s[6:7] offset:24 glc
	s_waitcnt vmcnt(0)
	buffer_invl2
	buffer_wbinvl1_vol
	v_cmp_ne_u64_e32 vcc, v[6:7], v[8:9]
	s_and_saveexec_b64 s[10:11], vcc
	s_cbranch_execz .LBB1_5
; %bb.2:
	s_mov_b64 s[12:13], 0
.LBB1_3:                                ; =>This Inner Loop Header: Depth=1
	s_sleep 1
	global_load_dwordx2 v[2:3], v0, s[6:7] offset:40
	global_load_dwordx2 v[10:11], v0, s[6:7]
	v_pk_mov_b32 v[8:9], v[6:7], v[6:7] op_sel:[0,1]
	s_waitcnt vmcnt(1)
	v_and_b32_e32 v2, v2, v8
	v_and_b32_e32 v1, v3, v9
	s_waitcnt vmcnt(0)
	v_mad_u64_u32 v[2:3], s[14:15], v2, 24, v[10:11]
	v_mov_b32_e32 v6, v3
	v_mad_u64_u32 v[6:7], s[14:15], v1, 24, v[6:7]
	v_mov_b32_e32 v3, v6
	global_load_dwordx2 v[6:7], v[2:3], off glc
	s_waitcnt vmcnt(0)
	global_atomic_cmpswap_x2 v[6:7], v0, v[6:9], s[6:7] offset:24 glc
	s_waitcnt vmcnt(0)
	buffer_invl2
	buffer_wbinvl1_vol
	v_cmp_eq_u64_e32 vcc, v[6:7], v[8:9]
	s_or_b64 s[12:13], vcc, s[12:13]
	s_andn2_b64 exec, exec, s[12:13]
	s_cbranch_execnz .LBB1_3
; %bb.4:
	s_or_b64 exec, exec, s[12:13]
.LBB1_5:
	s_or_b64 exec, exec, s[10:11]
.LBB1_6:
	s_or_b64 exec, exec, s[8:9]
	v_mov_b32_e32 v5, 0
	s_waitcnt lgkmcnt(0)
	global_load_dwordx2 v[8:9], v5, s[6:7] offset:40
	global_load_dwordx4 v[0:3], v5, s[6:7]
	v_readfirstlane_b32 s8, v6
	v_readfirstlane_b32 s9, v7
	s_mov_b64 s[10:11], exec
	s_waitcnt vmcnt(1)
	v_readfirstlane_b32 s12, v8
	v_readfirstlane_b32 s13, v9
	s_and_b64 s[12:13], s[8:9], s[12:13]
	s_mul_i32 s14, s13, 24
	s_mul_hi_u32 s15, s12, 24
	s_mul_i32 s16, s12, 24
	s_add_i32 s14, s15, s14
	v_mov_b32_e32 v6, s14
	s_waitcnt vmcnt(0)
	v_add_co_u32_e32 v8, vcc, s16, v0
	v_addc_co_u32_e32 v9, vcc, v1, v6, vcc
	s_and_saveexec_b64 s[14:15], s[4:5]
	s_cbranch_execz .LBB1_8
; %bb.7:
	v_pk_mov_b32 v[10:11], s[10:11], s[10:11] op_sel:[0,1]
	v_mov_b32_e32 v12, 2
	v_mov_b32_e32 v13, 1
	global_store_dwordx4 v[8:9], v[10:13], off offset:8
.LBB1_8:
	s_or_b64 exec, exec, s[14:15]
	s_lshl_b64 s[10:11], s[12:13], 12
	v_mov_b32_e32 v6, s11
	v_add_co_u32_e32 v2, vcc, s10, v2
	v_addc_co_u32_e32 v3, vcc, v3, v6, vcc
	v_lshlrev_b32_e32 v12, 6, v4
	s_mov_b32 s12, 0
	v_add_co_u32_e32 v10, vcc, v2, v12
	v_mov_b32_e32 v4, 33
	v_mov_b32_e32 v6, v5
	;; [unrolled: 1-line block ×3, first 2 shown]
	v_readfirstlane_b32 s10, v2
	v_readfirstlane_b32 s11, v3
	s_mov_b32 s13, s12
	v_addc_co_u32_e32 v11, vcc, 0, v3, vcc
	s_mov_b32 s14, s12
	s_mov_b32 s15, s12
	s_nop 0
	global_store_dwordx4 v12, v[4:7], s[10:11]
	v_pk_mov_b32 v[2:3], s[12:13], s[12:13] op_sel:[0,1]
	v_pk_mov_b32 v[4:5], s[14:15], s[14:15] op_sel:[0,1]
	global_store_dwordx4 v12, v[2:5], s[10:11] offset:16
	global_store_dwordx4 v12, v[2:5], s[10:11] offset:32
	;; [unrolled: 1-line block ×3, first 2 shown]
	s_and_saveexec_b64 s[10:11], s[4:5]
	s_cbranch_execz .LBB1_16
; %bb.9:
	v_mov_b32_e32 v6, 0
	global_load_dwordx2 v[14:15], v6, s[6:7] offset:32 glc
	global_load_dwordx2 v[2:3], v6, s[6:7] offset:40
	v_mov_b32_e32 v12, s8
	v_mov_b32_e32 v13, s9
	s_waitcnt vmcnt(0)
	v_and_b32_e32 v2, s8, v2
	v_and_b32_e32 v3, s9, v3
	v_mul_lo_u32 v3, v3, 24
	v_mul_hi_u32 v4, v2, 24
	v_mul_lo_u32 v2, v2, 24
	v_add_u32_e32 v3, v4, v3
	v_add_co_u32_e32 v4, vcc, v0, v2
	v_addc_co_u32_e32 v5, vcc, v1, v3, vcc
	global_store_dwordx2 v[4:5], v[14:15], off
	buffer_wbl2
	s_waitcnt vmcnt(0)
	global_atomic_cmpswap_x2 v[2:3], v6, v[12:15], s[6:7] offset:32 glc
	s_waitcnt vmcnt(0)
	v_cmp_ne_u64_e32 vcc, v[2:3], v[14:15]
	s_and_saveexec_b64 s[12:13], vcc
	s_cbranch_execz .LBB1_12
; %bb.10:
	s_mov_b64 s[14:15], 0
.LBB1_11:                               ; =>This Inner Loop Header: Depth=1
	s_sleep 1
	global_store_dwordx2 v[4:5], v[2:3], off
	v_mov_b32_e32 v0, s8
	v_mov_b32_e32 v1, s9
	buffer_wbl2
	s_waitcnt vmcnt(0)
	global_atomic_cmpswap_x2 v[0:1], v6, v[0:3], s[6:7] offset:32 glc
	s_waitcnt vmcnt(0)
	v_cmp_eq_u64_e32 vcc, v[0:1], v[2:3]
	s_or_b64 s[14:15], vcc, s[14:15]
	v_pk_mov_b32 v[2:3], v[0:1], v[0:1] op_sel:[0,1]
	s_andn2_b64 exec, exec, s[14:15]
	s_cbranch_execnz .LBB1_11
.LBB1_12:
	s_or_b64 exec, exec, s[12:13]
	v_mov_b32_e32 v3, 0
	global_load_dwordx2 v[0:1], v3, s[6:7] offset:16
	s_mov_b64 s[12:13], exec
	v_mbcnt_lo_u32_b32 v2, s12, 0
	v_mbcnt_hi_u32_b32 v2, s13, v2
	v_cmp_eq_u32_e32 vcc, 0, v2
	s_and_saveexec_b64 s[14:15], vcc
	s_cbranch_execz .LBB1_14
; %bb.13:
	s_bcnt1_i32_b64 s12, s[12:13]
	v_mov_b32_e32 v2, s12
	buffer_wbl2
	s_waitcnt vmcnt(0)
	global_atomic_add_x2 v[0:1], v[2:3], off offset:8
.LBB1_14:
	s_or_b64 exec, exec, s[14:15]
	s_waitcnt vmcnt(0)
	global_load_dwordx2 v[2:3], v[0:1], off offset:16
	s_waitcnt vmcnt(0)
	v_cmp_eq_u64_e32 vcc, 0, v[2:3]
	s_cbranch_vccnz .LBB1_16
; %bb.15:
	global_load_dword v0, v[0:1], off offset:24
	v_mov_b32_e32 v1, 0
	buffer_wbl2
	s_waitcnt vmcnt(0)
	global_store_dwordx2 v[2:3], v[0:1], off
	v_and_b32_e32 v0, 0xffffff, v0
	v_readfirstlane_b32 m0, v0
	s_sendmsg sendmsg(MSG_INTERRUPT)
.LBB1_16:
	s_or_b64 exec, exec, s[10:11]
	s_branch .LBB1_20
.LBB1_17:                               ;   in Loop: Header=BB1_20 Depth=1
	s_or_b64 exec, exec, s[10:11]
	v_readfirstlane_b32 s10, v0
	s_cmp_eq_u32 s10, 0
	s_cbranch_scc1 .LBB1_19
; %bb.18:                               ;   in Loop: Header=BB1_20 Depth=1
	s_sleep 1
	s_cbranch_execnz .LBB1_20
	s_branch .LBB1_22
.LBB1_19:
	s_branch .LBB1_22
.LBB1_20:                               ; =>This Inner Loop Header: Depth=1
	v_mov_b32_e32 v0, 1
	s_and_saveexec_b64 s[10:11], s[4:5]
	s_cbranch_execz .LBB1_17
; %bb.21:                               ;   in Loop: Header=BB1_20 Depth=1
	global_load_dword v0, v[8:9], off offset:20 glc
	s_waitcnt vmcnt(0)
	buffer_invl2
	buffer_wbinvl1_vol
	v_and_b32_e32 v0, 1, v0
	s_branch .LBB1_17
.LBB1_22:
	global_load_dwordx2 v[0:1], v[10:11], off
	s_and_saveexec_b64 s[10:11], s[4:5]
	s_cbranch_execz .LBB1_25
; %bb.23:
	v_mov_b32_e32 v8, 0
	global_load_dwordx2 v[6:7], v8, s[6:7] offset:40
	global_load_dwordx2 v[10:11], v8, s[6:7] offset:24 glc
	global_load_dwordx2 v[12:13], v8, s[6:7]
	v_mov_b32_e32 v3, s9
	s_mov_b64 s[4:5], 0
	s_waitcnt vmcnt(2)
	v_add_co_u32_e32 v5, vcc, 1, v6
	v_addc_co_u32_e32 v9, vcc, 0, v7, vcc
	v_add_co_u32_e32 v2, vcc, s8, v5
	v_addc_co_u32_e32 v3, vcc, v9, v3, vcc
	v_cmp_eq_u64_e32 vcc, 0, v[2:3]
	v_cndmask_b32_e32 v3, v3, v9, vcc
	v_cndmask_b32_e32 v2, v2, v5, vcc
	v_and_b32_e32 v5, v3, v7
	v_and_b32_e32 v6, v2, v6
	v_mul_lo_u32 v5, v5, 24
	v_mul_hi_u32 v7, v6, 24
	v_mul_lo_u32 v6, v6, 24
	v_add_u32_e32 v5, v7, v5
	s_waitcnt vmcnt(0)
	v_add_co_u32_e32 v6, vcc, v12, v6
	v_addc_co_u32_e32 v7, vcc, v13, v5, vcc
	v_mov_b32_e32 v4, v10
	global_store_dwordx2 v[6:7], v[10:11], off
	v_mov_b32_e32 v5, v11
	buffer_wbl2
	s_waitcnt vmcnt(0)
	global_atomic_cmpswap_x2 v[4:5], v8, v[2:5], s[6:7] offset:24 glc
	s_waitcnt vmcnt(0)
	v_cmp_ne_u64_e32 vcc, v[4:5], v[10:11]
	s_and_b64 exec, exec, vcc
	s_cbranch_execz .LBB1_25
.LBB1_24:                               ; =>This Inner Loop Header: Depth=1
	s_sleep 1
	global_store_dwordx2 v[6:7], v[4:5], off
	buffer_wbl2
	s_waitcnt vmcnt(0)
	global_atomic_cmpswap_x2 v[10:11], v8, v[2:5], s[6:7] offset:24 glc
	s_waitcnt vmcnt(0)
	v_cmp_eq_u64_e32 vcc, v[10:11], v[4:5]
	s_or_b64 s[4:5], vcc, s[4:5]
	v_pk_mov_b32 v[4:5], v[10:11], v[10:11] op_sel:[0,1]
	s_andn2_b64 exec, exec, s[4:5]
	s_cbranch_execnz .LBB1_24
.LBB1_25:
	s_or_b64 exec, exec, s[10:11]
	s_waitcnt vmcnt(0) lgkmcnt(0)
	s_setpc_b64 s[30:31]
.Lfunc_end1:
	.size	__ockl_printf_begin, .Lfunc_end1-__ockl_printf_begin
                                        ; -- End function
	.section	.AMDGPU.csdata,"",@progbits
; Function info:
; codeLenInByte = 1284
; NumSgprs: 36
; NumVgprs: 16
; NumAgprs: 0
; TotalNumVgprs: 16
; ScratchSize: 0
; MemoryBound: 0
	.text
	.p2align	2                               ; -- Begin function __ockl_printf_append_string_n
	.type	__ockl_printf_append_string_n,@function
__ockl_printf_append_string_n:          ; @__ockl_printf_append_string_n
; %bb.0:
	s_waitcnt vmcnt(0) expcnt(0) lgkmcnt(0)
	v_mov_b32_e32 v7, v3
	v_mov_b32_e32 v6, v2
	;; [unrolled: 1-line block ×3, first 2 shown]
	s_mov_b64 s[6:7], 0
	v_cmp_ne_u64_e32 vcc, 0, v[6:7]
	v_mbcnt_lo_u32_b32 v2, -1, 0
	s_and_saveexec_b64 s[4:5], vcc
	s_xor_b64 s[10:11], exec, s[4:5]
	s_cbranch_execz .LBB2_86
; %bb.1:
	s_load_dwordx2 s[12:13], s[8:9], 0x50
	v_and_b32_e32 v28, 2, v3
	s_mov_b32 s22, 0
	v_mov_b32_e32 v31, 0
	v_and_b32_e32 v0, -3, v3
	v_mbcnt_hi_u32_b32 v32, -1, v2
	s_movk_i32 s23, 0xff1f
	v_mov_b32_e32 v10, 2
	v_mov_b32_e32 v11, 1
	s_branch .LBB2_3
.LBB2_2:                                ;   in Loop: Header=BB2_3 Depth=1
	s_or_b64 exec, exec, s[16:17]
	v_sub_co_u32_e32 v4, vcc, v4, v34
	v_subb_co_u32_e32 v5, vcc, v5, v35, vcc
	v_cmp_eq_u64_e32 vcc, 0, v[4:5]
	s_or_b64 s[6:7], vcc, s[6:7]
	v_add_co_u32_e32 v6, vcc, v6, v34
	v_addc_co_u32_e32 v7, vcc, v7, v35, vcc
	s_andn2_b64 exec, exec, s[6:7]
	s_cbranch_execz .LBB2_85
.LBB2_3:                                ; =>This Loop Header: Depth=1
                                        ;     Child Loop BB2_6 Depth 2
                                        ;     Child Loop BB2_14 Depth 2
	;; [unrolled: 1-line block ×11, first 2 shown]
	v_cmp_gt_u64_e32 vcc, 56, v[4:5]
	v_cndmask_b32_e32 v35, 0, v5, vcc
	v_cndmask_b32_e32 v34, 56, v4, vcc
	v_cmp_gt_u64_e32 vcc, 8, v[4:5]
                                        ; implicit-def: $vgpr2_vgpr3
                                        ; implicit-def: $sgpr14
	s_and_saveexec_b64 s[4:5], vcc
	s_xor_b64 s[4:5], exec, s[4:5]
	s_cbranch_execz .LBB2_9
; %bb.4:                                ;   in Loop: Header=BB2_3 Depth=1
	s_mov_b64 s[16:17], 0
	v_cmp_ne_u64_e32 vcc, 0, v[4:5]
	s_waitcnt vmcnt(0)
	v_pk_mov_b32 v[2:3], 0, 0
	s_and_saveexec_b64 s[14:15], vcc
	s_cbranch_execz .LBB2_8
; %bb.5:                                ;   in Loop: Header=BB2_3 Depth=1
	v_lshlrev_b64 v[8:9], 3, v[34:35]
	v_pk_mov_b32 v[2:3], 0, 0
	v_pk_mov_b32 v[12:13], v[6:7], v[6:7] op_sel:[0,1]
	s_mov_b64 s[18:19], 0
.LBB2_6:                                ;   Parent Loop BB2_3 Depth=1
                                        ; =>  This Inner Loop Header: Depth=2
	flat_load_ubyte v9, v[12:13]
	v_mov_b32_e32 v15, s22
	v_add_co_u32_e32 v12, vcc, 1, v12
	v_addc_co_u32_e32 v13, vcc, 0, v13, vcc
	s_waitcnt vmcnt(0) lgkmcnt(0)
	v_and_b32_e32 v14, 0xffff, v9
	v_lshlrev_b64 v[14:15], s18, v[14:15]
	s_add_u32 s18, s18, 8
	s_addc_u32 s19, s19, 0
	v_cmp_eq_u32_e32 vcc, s18, v8
	v_or_b32_e32 v3, v15, v3
	s_or_b64 s[16:17], vcc, s[16:17]
	v_or_b32_e32 v2, v14, v2
	s_andn2_b64 exec, exec, s[16:17]
	s_cbranch_execnz .LBB2_6
; %bb.7:                                ;   in Loop: Header=BB2_3 Depth=1
	s_or_b64 exec, exec, s[16:17]
.LBB2_8:                                ;   in Loop: Header=BB2_3 Depth=1
	s_or_b64 exec, exec, s[14:15]
	s_mov_b32 s14, 0
.LBB2_9:                                ;   in Loop: Header=BB2_3 Depth=1
	s_or_saveexec_b64 s[4:5], s[4:5]
	v_mov_b32_e32 v14, s14
	v_pk_mov_b32 v[8:9], v[6:7], v[6:7] op_sel:[0,1]
	s_xor_b64 exec, exec, s[4:5]
	s_cbranch_execz .LBB2_11
; %bb.10:                               ;   in Loop: Header=BB2_3 Depth=1
	s_waitcnt vmcnt(0)
	flat_load_dwordx2 v[2:3], v[6:7]
	v_add_u32_e32 v14, -8, v34
	s_waitcnt vmcnt(0) lgkmcnt(0)
	v_and_b32_e32 v8, 0xff, v3
	v_and_b32_e32 v9, 0xff00, v3
	;; [unrolled: 1-line block ×4, first 2 shown]
	v_or_b32_e32 v8, v8, v9
	v_or3_b32 v3, v8, v12, v3
	v_add_co_u32_e32 v8, vcc, 8, v6
	v_or3_b32 v2, v2, 0, 0
	v_addc_co_u32_e32 v9, vcc, 0, v7, vcc
.LBB2_11:                               ;   in Loop: Header=BB2_3 Depth=1
	s_or_b64 exec, exec, s[4:5]
	v_cmp_gt_u32_e32 vcc, 8, v14
                                        ; implicit-def: $vgpr12_vgpr13
                                        ; implicit-def: $sgpr14
	s_and_saveexec_b64 s[4:5], vcc
	s_xor_b64 s[4:5], exec, s[4:5]
	s_cbranch_execz .LBB2_17
; %bb.12:                               ;   in Loop: Header=BB2_3 Depth=1
	v_cmp_ne_u32_e32 vcc, 0, v14
	v_pk_mov_b32 v[12:13], 0, 0
	s_and_saveexec_b64 s[14:15], vcc
	s_cbranch_execz .LBB2_16
; %bb.13:                               ;   in Loop: Header=BB2_3 Depth=1
	s_mov_b64 s[16:17], 0
	v_pk_mov_b32 v[12:13], 0, 0
	s_mov_b64 s[18:19], 0
	s_mov_b64 s[20:21], 0
.LBB2_14:                               ;   Parent Loop BB2_3 Depth=1
                                        ; =>  This Inner Loop Header: Depth=2
	v_mov_b32_e32 v15, s21
	v_add_co_u32_e32 v16, vcc, s20, v8
	v_addc_co_u32_e32 v17, vcc, v9, v15, vcc
	flat_load_ubyte v15, v[16:17]
	s_add_u32 s20, s20, 1
	v_mov_b32_e32 v17, s22
	s_addc_u32 s21, s21, 0
	v_cmp_eq_u32_e32 vcc, s20, v14
	s_waitcnt vmcnt(0) lgkmcnt(0)
	v_and_b32_e32 v16, 0xffff, v15
	v_lshlrev_b64 v[16:17], s18, v[16:17]
	s_add_u32 s18, s18, 8
	s_addc_u32 s19, s19, 0
	v_or_b32_e32 v13, v17, v13
	s_or_b64 s[16:17], vcc, s[16:17]
	v_or_b32_e32 v12, v16, v12
	s_andn2_b64 exec, exec, s[16:17]
	s_cbranch_execnz .LBB2_14
; %bb.15:                               ;   in Loop: Header=BB2_3 Depth=1
	s_or_b64 exec, exec, s[16:17]
.LBB2_16:                               ;   in Loop: Header=BB2_3 Depth=1
	s_or_b64 exec, exec, s[14:15]
	s_mov_b32 s14, 0
                                        ; implicit-def: $vgpr14
.LBB2_17:                               ;   in Loop: Header=BB2_3 Depth=1
	s_or_saveexec_b64 s[4:5], s[4:5]
	v_mov_b32_e32 v16, s14
	s_xor_b64 exec, exec, s[4:5]
	s_cbranch_execz .LBB2_19
; %bb.18:                               ;   in Loop: Header=BB2_3 Depth=1
	flat_load_dwordx2 v[12:13], v[8:9]
	v_add_u32_e32 v16, -8, v14
	v_add_co_u32_e32 v8, vcc, 8, v8
	v_addc_co_u32_e32 v9, vcc, 0, v9, vcc
	s_waitcnt vmcnt(0) lgkmcnt(0)
	v_and_b32_e32 v14, 0xff, v13
	v_and_b32_e32 v15, 0xff00, v13
	;; [unrolled: 1-line block ×4, first 2 shown]
	v_or_b32_e32 v14, v14, v15
	v_or3_b32 v12, v12, 0, 0
	v_or3_b32 v13, v14, v17, v13
.LBB2_19:                               ;   in Loop: Header=BB2_3 Depth=1
	s_or_b64 exec, exec, s[4:5]
	v_cmp_gt_u32_e32 vcc, 8, v16
                                        ; implicit-def: $sgpr14
	s_and_saveexec_b64 s[4:5], vcc
	s_xor_b64 s[4:5], exec, s[4:5]
	s_cbranch_execz .LBB2_25
; %bb.20:                               ;   in Loop: Header=BB2_3 Depth=1
	v_cmp_ne_u32_e32 vcc, 0, v16
	v_pk_mov_b32 v[14:15], 0, 0
	s_and_saveexec_b64 s[14:15], vcc
	s_cbranch_execz .LBB2_24
; %bb.21:                               ;   in Loop: Header=BB2_3 Depth=1
	s_mov_b64 s[16:17], 0
	v_pk_mov_b32 v[14:15], 0, 0
	s_mov_b64 s[18:19], 0
	s_mov_b64 s[20:21], 0
.LBB2_22:                               ;   Parent Loop BB2_3 Depth=1
                                        ; =>  This Inner Loop Header: Depth=2
	v_mov_b32_e32 v17, s21
	v_add_co_u32_e32 v18, vcc, s20, v8
	v_addc_co_u32_e32 v19, vcc, v9, v17, vcc
	flat_load_ubyte v17, v[18:19]
	s_add_u32 s20, s20, 1
	v_mov_b32_e32 v19, s22
	s_addc_u32 s21, s21, 0
	v_cmp_eq_u32_e32 vcc, s20, v16
	s_waitcnt vmcnt(0) lgkmcnt(0)
	v_and_b32_e32 v18, 0xffff, v17
	v_lshlrev_b64 v[18:19], s18, v[18:19]
	s_add_u32 s18, s18, 8
	s_addc_u32 s19, s19, 0
	v_or_b32_e32 v15, v19, v15
	s_or_b64 s[16:17], vcc, s[16:17]
	v_or_b32_e32 v14, v18, v14
	s_andn2_b64 exec, exec, s[16:17]
	s_cbranch_execnz .LBB2_22
; %bb.23:                               ;   in Loop: Header=BB2_3 Depth=1
	s_or_b64 exec, exec, s[16:17]
.LBB2_24:                               ;   in Loop: Header=BB2_3 Depth=1
	s_or_b64 exec, exec, s[14:15]
	s_mov_b32 s14, 0
                                        ; implicit-def: $vgpr16
.LBB2_25:                               ;   in Loop: Header=BB2_3 Depth=1
	s_or_saveexec_b64 s[4:5], s[4:5]
	v_mov_b32_e32 v18, s14
	s_xor_b64 exec, exec, s[4:5]
	s_cbranch_execz .LBB2_27
; %bb.26:                               ;   in Loop: Header=BB2_3 Depth=1
	flat_load_dwordx2 v[14:15], v[8:9]
	v_add_u32_e32 v18, -8, v16
	v_add_co_u32_e32 v8, vcc, 8, v8
	v_addc_co_u32_e32 v9, vcc, 0, v9, vcc
	s_waitcnt vmcnt(0) lgkmcnt(0)
	v_and_b32_e32 v16, 0xff, v15
	v_and_b32_e32 v17, 0xff00, v15
	;; [unrolled: 1-line block ×4, first 2 shown]
	v_or_b32_e32 v16, v16, v17
	v_or3_b32 v14, v14, 0, 0
	v_or3_b32 v15, v16, v19, v15
.LBB2_27:                               ;   in Loop: Header=BB2_3 Depth=1
	s_or_b64 exec, exec, s[4:5]
	v_cmp_gt_u32_e32 vcc, 8, v18
                                        ; implicit-def: $vgpr16_vgpr17
                                        ; implicit-def: $sgpr14
	s_and_saveexec_b64 s[4:5], vcc
	s_xor_b64 s[4:5], exec, s[4:5]
	s_cbranch_execz .LBB2_33
; %bb.28:                               ;   in Loop: Header=BB2_3 Depth=1
	v_cmp_ne_u32_e32 vcc, 0, v18
	v_pk_mov_b32 v[16:17], 0, 0
	s_and_saveexec_b64 s[14:15], vcc
	s_cbranch_execz .LBB2_32
; %bb.29:                               ;   in Loop: Header=BB2_3 Depth=1
	s_mov_b64 s[16:17], 0
	v_pk_mov_b32 v[16:17], 0, 0
	s_mov_b64 s[18:19], 0
	s_mov_b64 s[20:21], 0
.LBB2_30:                               ;   Parent Loop BB2_3 Depth=1
                                        ; =>  This Inner Loop Header: Depth=2
	v_mov_b32_e32 v19, s21
	v_add_co_u32_e32 v20, vcc, s20, v8
	v_addc_co_u32_e32 v21, vcc, v9, v19, vcc
	flat_load_ubyte v19, v[20:21]
	s_add_u32 s20, s20, 1
	v_mov_b32_e32 v21, s22
	s_addc_u32 s21, s21, 0
	v_cmp_eq_u32_e32 vcc, s20, v18
	s_waitcnt vmcnt(0) lgkmcnt(0)
	v_and_b32_e32 v20, 0xffff, v19
	v_lshlrev_b64 v[20:21], s18, v[20:21]
	s_add_u32 s18, s18, 8
	s_addc_u32 s19, s19, 0
	v_or_b32_e32 v17, v21, v17
	s_or_b64 s[16:17], vcc, s[16:17]
	v_or_b32_e32 v16, v20, v16
	s_andn2_b64 exec, exec, s[16:17]
	s_cbranch_execnz .LBB2_30
; %bb.31:                               ;   in Loop: Header=BB2_3 Depth=1
	s_or_b64 exec, exec, s[16:17]
.LBB2_32:                               ;   in Loop: Header=BB2_3 Depth=1
	s_or_b64 exec, exec, s[14:15]
	s_mov_b32 s14, 0
                                        ; implicit-def: $vgpr18
.LBB2_33:                               ;   in Loop: Header=BB2_3 Depth=1
	s_or_saveexec_b64 s[4:5], s[4:5]
	v_mov_b32_e32 v20, s14
	s_xor_b64 exec, exec, s[4:5]
	s_cbranch_execz .LBB2_35
; %bb.34:                               ;   in Loop: Header=BB2_3 Depth=1
	flat_load_dwordx2 v[16:17], v[8:9]
	v_add_u32_e32 v20, -8, v18
	v_add_co_u32_e32 v8, vcc, 8, v8
	v_addc_co_u32_e32 v9, vcc, 0, v9, vcc
	s_waitcnt vmcnt(0) lgkmcnt(0)
	v_and_b32_e32 v18, 0xff, v17
	v_and_b32_e32 v19, 0xff00, v17
	;; [unrolled: 1-line block ×4, first 2 shown]
	v_or_b32_e32 v18, v18, v19
	v_or3_b32 v16, v16, 0, 0
	v_or3_b32 v17, v18, v21, v17
.LBB2_35:                               ;   in Loop: Header=BB2_3 Depth=1
	s_or_b64 exec, exec, s[4:5]
	v_cmp_gt_u32_e32 vcc, 8, v20
                                        ; implicit-def: $sgpr14
	s_and_saveexec_b64 s[4:5], vcc
	s_xor_b64 s[4:5], exec, s[4:5]
	s_cbranch_execz .LBB2_41
; %bb.36:                               ;   in Loop: Header=BB2_3 Depth=1
	v_cmp_ne_u32_e32 vcc, 0, v20
	v_pk_mov_b32 v[18:19], 0, 0
	s_and_saveexec_b64 s[14:15], vcc
	s_cbranch_execz .LBB2_40
; %bb.37:                               ;   in Loop: Header=BB2_3 Depth=1
	s_mov_b64 s[16:17], 0
	v_pk_mov_b32 v[18:19], 0, 0
	s_mov_b64 s[18:19], 0
	s_mov_b64 s[20:21], 0
.LBB2_38:                               ;   Parent Loop BB2_3 Depth=1
                                        ; =>  This Inner Loop Header: Depth=2
	v_mov_b32_e32 v21, s21
	v_add_co_u32_e32 v22, vcc, s20, v8
	v_addc_co_u32_e32 v23, vcc, v9, v21, vcc
	flat_load_ubyte v21, v[22:23]
	s_add_u32 s20, s20, 1
	v_mov_b32_e32 v23, s22
	s_addc_u32 s21, s21, 0
	v_cmp_eq_u32_e32 vcc, s20, v20
	s_waitcnt vmcnt(0) lgkmcnt(0)
	v_and_b32_e32 v22, 0xffff, v21
	v_lshlrev_b64 v[22:23], s18, v[22:23]
	s_add_u32 s18, s18, 8
	s_addc_u32 s19, s19, 0
	v_or_b32_e32 v19, v23, v19
	s_or_b64 s[16:17], vcc, s[16:17]
	v_or_b32_e32 v18, v22, v18
	s_andn2_b64 exec, exec, s[16:17]
	s_cbranch_execnz .LBB2_38
; %bb.39:                               ;   in Loop: Header=BB2_3 Depth=1
	s_or_b64 exec, exec, s[16:17]
.LBB2_40:                               ;   in Loop: Header=BB2_3 Depth=1
	s_or_b64 exec, exec, s[14:15]
	s_mov_b32 s14, 0
                                        ; implicit-def: $vgpr20
.LBB2_41:                               ;   in Loop: Header=BB2_3 Depth=1
	s_or_saveexec_b64 s[4:5], s[4:5]
	v_mov_b32_e32 v22, s14
	s_xor_b64 exec, exec, s[4:5]
	s_cbranch_execz .LBB2_43
; %bb.42:                               ;   in Loop: Header=BB2_3 Depth=1
	flat_load_dwordx2 v[18:19], v[8:9]
	v_add_u32_e32 v22, -8, v20
	v_add_co_u32_e32 v8, vcc, 8, v8
	v_addc_co_u32_e32 v9, vcc, 0, v9, vcc
	s_waitcnt vmcnt(0) lgkmcnt(0)
	v_and_b32_e32 v20, 0xff, v19
	v_and_b32_e32 v21, 0xff00, v19
	;; [unrolled: 1-line block ×4, first 2 shown]
	v_or_b32_e32 v20, v20, v21
	v_or3_b32 v18, v18, 0, 0
	v_or3_b32 v19, v20, v23, v19
.LBB2_43:                               ;   in Loop: Header=BB2_3 Depth=1
	s_or_b64 exec, exec, s[4:5]
	v_cmp_gt_u32_e32 vcc, 8, v22
                                        ; implicit-def: $vgpr20_vgpr21
                                        ; implicit-def: $sgpr14
	s_and_saveexec_b64 s[4:5], vcc
	s_xor_b64 s[4:5], exec, s[4:5]
	s_cbranch_execz .LBB2_49
; %bb.44:                               ;   in Loop: Header=BB2_3 Depth=1
	v_cmp_ne_u32_e32 vcc, 0, v22
	v_pk_mov_b32 v[20:21], 0, 0
	s_and_saveexec_b64 s[14:15], vcc
	s_cbranch_execz .LBB2_48
; %bb.45:                               ;   in Loop: Header=BB2_3 Depth=1
	s_mov_b64 s[16:17], 0
	v_pk_mov_b32 v[20:21], 0, 0
	s_mov_b64 s[18:19], 0
	s_mov_b64 s[20:21], 0
.LBB2_46:                               ;   Parent Loop BB2_3 Depth=1
                                        ; =>  This Inner Loop Header: Depth=2
	v_mov_b32_e32 v23, s21
	v_add_co_u32_e32 v24, vcc, s20, v8
	v_addc_co_u32_e32 v25, vcc, v9, v23, vcc
	flat_load_ubyte v23, v[24:25]
	s_add_u32 s20, s20, 1
	v_mov_b32_e32 v25, s22
	s_addc_u32 s21, s21, 0
	v_cmp_eq_u32_e32 vcc, s20, v22
	s_waitcnt vmcnt(0) lgkmcnt(0)
	v_and_b32_e32 v24, 0xffff, v23
	v_lshlrev_b64 v[24:25], s18, v[24:25]
	s_add_u32 s18, s18, 8
	s_addc_u32 s19, s19, 0
	v_or_b32_e32 v21, v25, v21
	s_or_b64 s[16:17], vcc, s[16:17]
	v_or_b32_e32 v20, v24, v20
	s_andn2_b64 exec, exec, s[16:17]
	s_cbranch_execnz .LBB2_46
; %bb.47:                               ;   in Loop: Header=BB2_3 Depth=1
	s_or_b64 exec, exec, s[16:17]
.LBB2_48:                               ;   in Loop: Header=BB2_3 Depth=1
	s_or_b64 exec, exec, s[14:15]
	s_mov_b32 s14, 0
                                        ; implicit-def: $vgpr22
.LBB2_49:                               ;   in Loop: Header=BB2_3 Depth=1
	s_or_saveexec_b64 s[4:5], s[4:5]
	v_mov_b32_e32 v24, s14
	s_xor_b64 exec, exec, s[4:5]
	s_cbranch_execz .LBB2_51
; %bb.50:                               ;   in Loop: Header=BB2_3 Depth=1
	flat_load_dwordx2 v[20:21], v[8:9]
	v_add_u32_e32 v24, -8, v22
	v_add_co_u32_e32 v8, vcc, 8, v8
	v_addc_co_u32_e32 v9, vcc, 0, v9, vcc
	s_waitcnt vmcnt(0) lgkmcnt(0)
	v_and_b32_e32 v22, 0xff, v21
	v_and_b32_e32 v23, 0xff00, v21
	;; [unrolled: 1-line block ×4, first 2 shown]
	v_or_b32_e32 v22, v22, v23
	v_or3_b32 v20, v20, 0, 0
	v_or3_b32 v21, v22, v25, v21
.LBB2_51:                               ;   in Loop: Header=BB2_3 Depth=1
	s_or_b64 exec, exec, s[4:5]
	v_cmp_gt_u32_e32 vcc, 8, v24
	s_and_saveexec_b64 s[4:5], vcc
	s_xor_b64 s[4:5], exec, s[4:5]
	s_cbranch_execz .LBB2_57
; %bb.52:                               ;   in Loop: Header=BB2_3 Depth=1
	v_cmp_ne_u32_e32 vcc, 0, v24
	v_pk_mov_b32 v[22:23], 0, 0
	s_and_saveexec_b64 s[14:15], vcc
	s_cbranch_execz .LBB2_56
; %bb.53:                               ;   in Loop: Header=BB2_3 Depth=1
	s_mov_b64 s[16:17], 0
	v_pk_mov_b32 v[22:23], 0, 0
	s_mov_b64 s[18:19], 0
.LBB2_54:                               ;   Parent Loop BB2_3 Depth=1
                                        ; =>  This Inner Loop Header: Depth=2
	flat_load_ubyte v25, v[8:9]
	v_mov_b32_e32 v27, s22
	v_add_co_u32_e32 v8, vcc, 1, v8
	v_add_u32_e32 v24, -1, v24
	v_addc_co_u32_e32 v9, vcc, 0, v9, vcc
	v_cmp_eq_u32_e32 vcc, 0, v24
	s_waitcnt vmcnt(0) lgkmcnt(0)
	v_and_b32_e32 v26, 0xffff, v25
	v_lshlrev_b64 v[26:27], s18, v[26:27]
	s_add_u32 s18, s18, 8
	s_addc_u32 s19, s19, 0
	v_or_b32_e32 v23, v27, v23
	s_or_b64 s[16:17], vcc, s[16:17]
	v_or_b32_e32 v22, v26, v22
	s_andn2_b64 exec, exec, s[16:17]
	s_cbranch_execnz .LBB2_54
; %bb.55:                               ;   in Loop: Header=BB2_3 Depth=1
	s_or_b64 exec, exec, s[16:17]
.LBB2_56:                               ;   in Loop: Header=BB2_3 Depth=1
	s_or_b64 exec, exec, s[14:15]
                                        ; implicit-def: $vgpr8_vgpr9
.LBB2_57:                               ;   in Loop: Header=BB2_3 Depth=1
	s_andn2_saveexec_b64 s[4:5], s[4:5]
	s_cbranch_execz .LBB2_59
; %bb.58:                               ;   in Loop: Header=BB2_3 Depth=1
	flat_load_dwordx2 v[8:9], v[8:9]
	s_waitcnt vmcnt(0) lgkmcnt(0)
	v_and_b32_e32 v22, 0xff, v9
	v_and_b32_e32 v23, 0xff00, v9
	;; [unrolled: 1-line block ×4, first 2 shown]
	v_or_b32_e32 v22, v22, v23
	v_or3_b32 v23, v22, v24, v9
	v_or3_b32 v22, v8, 0, 0
.LBB2_59:                               ;   in Loop: Header=BB2_3 Depth=1
	s_or_b64 exec, exec, s[4:5]
	v_readfirstlane_b32 s4, v32
	v_cmp_eq_u32_e64 s[4:5], s4, v32
	v_pk_mov_b32 v[8:9], 0, 0
	s_and_saveexec_b64 s[14:15], s[4:5]
	s_cbranch_execz .LBB2_65
; %bb.60:                               ;   in Loop: Header=BB2_3 Depth=1
	s_waitcnt lgkmcnt(0)
	global_load_dwordx2 v[26:27], v31, s[12:13] offset:24 glc
	s_waitcnt vmcnt(0)
	buffer_invl2
	buffer_wbinvl1_vol
	global_load_dwordx2 v[8:9], v31, s[12:13] offset:40
	global_load_dwordx2 v[24:25], v31, s[12:13]
	s_waitcnt vmcnt(1)
	v_and_b32_e32 v8, v8, v26
	v_and_b32_e32 v9, v9, v27
	v_mul_lo_u32 v9, v9, 24
	v_mul_hi_u32 v29, v8, 24
	v_mul_lo_u32 v8, v8, 24
	v_add_u32_e32 v9, v29, v9
	s_waitcnt vmcnt(0)
	v_add_co_u32_e32 v8, vcc, v24, v8
	v_addc_co_u32_e32 v9, vcc, v25, v9, vcc
	global_load_dwordx2 v[24:25], v[8:9], off glc
	s_waitcnt vmcnt(0)
	global_atomic_cmpswap_x2 v[8:9], v31, v[24:27], s[12:13] offset:24 glc
	s_waitcnt vmcnt(0)
	buffer_invl2
	buffer_wbinvl1_vol
	v_cmp_ne_u64_e32 vcc, v[8:9], v[26:27]
	s_and_saveexec_b64 s[16:17], vcc
	s_cbranch_execz .LBB2_64
; %bb.61:                               ;   in Loop: Header=BB2_3 Depth=1
	s_mov_b64 s[18:19], 0
.LBB2_62:                               ;   Parent Loop BB2_3 Depth=1
                                        ; =>  This Inner Loop Header: Depth=2
	s_sleep 1
	global_load_dwordx2 v[24:25], v31, s[12:13] offset:40
	global_load_dwordx2 v[36:37], v31, s[12:13]
	v_pk_mov_b32 v[26:27], v[8:9], v[8:9] op_sel:[0,1]
	s_waitcnt vmcnt(1)
	v_and_b32_e32 v8, v24, v26
	s_waitcnt vmcnt(0)
	v_mad_u64_u32 v[8:9], s[20:21], v8, 24, v[36:37]
	v_and_b32_e32 v25, v25, v27
	v_mov_b32_e32 v24, v9
	v_mad_u64_u32 v[24:25], s[20:21], v25, 24, v[24:25]
	v_mov_b32_e32 v9, v24
	global_load_dwordx2 v[24:25], v[8:9], off glc
	s_waitcnt vmcnt(0)
	global_atomic_cmpswap_x2 v[8:9], v31, v[24:27], s[12:13] offset:24 glc
	s_waitcnt vmcnt(0)
	buffer_invl2
	buffer_wbinvl1_vol
	v_cmp_eq_u64_e32 vcc, v[8:9], v[26:27]
	s_or_b64 s[18:19], vcc, s[18:19]
	s_andn2_b64 exec, exec, s[18:19]
	s_cbranch_execnz .LBB2_62
; %bb.63:                               ;   in Loop: Header=BB2_3 Depth=1
	s_or_b64 exec, exec, s[18:19]
.LBB2_64:                               ;   in Loop: Header=BB2_3 Depth=1
	s_or_b64 exec, exec, s[16:17]
.LBB2_65:                               ;   in Loop: Header=BB2_3 Depth=1
	s_or_b64 exec, exec, s[14:15]
	s_waitcnt lgkmcnt(0)
	global_load_dwordx2 v[36:37], v31, s[12:13] offset:40
	global_load_dwordx4 v[24:27], v31, s[12:13]
	v_readfirstlane_b32 s14, v8
	v_readfirstlane_b32 s15, v9
	s_mov_b64 s[16:17], exec
	s_waitcnt vmcnt(1)
	v_readfirstlane_b32 s18, v36
	v_readfirstlane_b32 s19, v37
	s_and_b64 s[18:19], s[14:15], s[18:19]
	s_mul_i32 s20, s19, 24
	s_mul_hi_u32 s21, s18, 24
	s_mul_i32 s24, s18, 24
	s_add_i32 s20, s21, s20
	v_mov_b32_e32 v8, s20
	s_waitcnt vmcnt(0)
	v_add_co_u32_e32 v36, vcc, s24, v24
	v_addc_co_u32_e32 v37, vcc, v25, v8, vcc
	s_and_saveexec_b64 s[20:21], s[4:5]
	s_cbranch_execz .LBB2_67
; %bb.66:                               ;   in Loop: Header=BB2_3 Depth=1
	v_pk_mov_b32 v[8:9], s[16:17], s[16:17] op_sel:[0,1]
	global_store_dwordx4 v[36:37], v[8:11], off offset:8
.LBB2_67:                               ;   in Loop: Header=BB2_3 Depth=1
	s_or_b64 exec, exec, s[20:21]
	s_lshl_b64 s[16:17], s[18:19], 12
	v_mov_b32_e32 v9, s17
	v_add_co_u32_e32 v8, vcc, s16, v26
	v_addc_co_u32_e32 v9, vcc, v27, v9, vcc
	v_or_b32_e32 v26, 0, v1
	v_cmp_lt_u64_e32 vcc, 56, v[4:5]
	v_or_b32_e32 v27, v0, v28
	v_cndmask_b32_e32 v1, v26, v1, vcc
	v_lshl_add_u32 v26, v34, 2, 28
	v_cndmask_b32_e32 v0, v27, v0, vcc
	v_and_b32_e32 v26, 0x1e0, v26
	v_and_or_b32 v0, v0, s23, v26
	v_lshlrev_b32_e32 v26, 6, v32
	v_readfirstlane_b32 s16, v8
	v_readfirstlane_b32 s17, v9
	s_nop 4
	global_store_dwordx4 v26, v[0:3], s[16:17]
	global_store_dwordx4 v26, v[12:15], s[16:17] offset:16
	global_store_dwordx4 v26, v[16:19], s[16:17] offset:32
	;; [unrolled: 1-line block ×3, first 2 shown]
	s_and_saveexec_b64 s[16:17], s[4:5]
	s_cbranch_execz .LBB2_75
; %bb.68:                               ;   in Loop: Header=BB2_3 Depth=1
	global_load_dwordx2 v[16:17], v31, s[12:13] offset:32 glc
	global_load_dwordx2 v[0:1], v31, s[12:13] offset:40
	v_mov_b32_e32 v14, s14
	v_mov_b32_e32 v15, s15
	s_waitcnt vmcnt(0)
	v_readfirstlane_b32 s18, v0
	v_readfirstlane_b32 s19, v1
	s_and_b64 s[18:19], s[18:19], s[14:15]
	s_mul_i32 s19, s19, 24
	s_mul_hi_u32 s20, s18, 24
	s_mul_i32 s18, s18, 24
	s_add_i32 s19, s20, s19
	v_mov_b32_e32 v0, s19
	v_add_co_u32_e32 v12, vcc, s18, v24
	v_addc_co_u32_e32 v13, vcc, v25, v0, vcc
	global_store_dwordx2 v[12:13], v[16:17], off
	buffer_wbl2
	s_waitcnt vmcnt(0)
	global_atomic_cmpswap_x2 v[2:3], v31, v[14:17], s[12:13] offset:32 glc
	s_waitcnt vmcnt(0)
	v_cmp_ne_u64_e32 vcc, v[2:3], v[16:17]
	s_and_saveexec_b64 s[18:19], vcc
	s_cbranch_execz .LBB2_71
; %bb.69:                               ;   in Loop: Header=BB2_3 Depth=1
	s_mov_b64 s[20:21], 0
.LBB2_70:                               ;   Parent Loop BB2_3 Depth=1
                                        ; =>  This Inner Loop Header: Depth=2
	s_sleep 1
	global_store_dwordx2 v[12:13], v[2:3], off
	v_mov_b32_e32 v0, s14
	v_mov_b32_e32 v1, s15
	buffer_wbl2
	s_waitcnt vmcnt(0)
	global_atomic_cmpswap_x2 v[0:1], v31, v[0:3], s[12:13] offset:32 glc
	s_waitcnt vmcnt(0)
	v_cmp_eq_u64_e32 vcc, v[0:1], v[2:3]
	s_or_b64 s[20:21], vcc, s[20:21]
	v_pk_mov_b32 v[2:3], v[0:1], v[0:1] op_sel:[0,1]
	s_andn2_b64 exec, exec, s[20:21]
	s_cbranch_execnz .LBB2_70
.LBB2_71:                               ;   in Loop: Header=BB2_3 Depth=1
	s_or_b64 exec, exec, s[18:19]
	global_load_dwordx2 v[0:1], v31, s[12:13] offset:16
	s_mov_b64 s[20:21], exec
	v_mbcnt_lo_u32_b32 v2, s20, 0
	v_mbcnt_hi_u32_b32 v2, s21, v2
	v_cmp_eq_u32_e32 vcc, 0, v2
	s_and_saveexec_b64 s[18:19], vcc
	s_cbranch_execz .LBB2_73
; %bb.72:                               ;   in Loop: Header=BB2_3 Depth=1
	s_bcnt1_i32_b64 s20, s[20:21]
	v_mov_b32_e32 v30, s20
	buffer_wbl2
	s_waitcnt vmcnt(0)
	global_atomic_add_x2 v[0:1], v[30:31], off offset:8
.LBB2_73:                               ;   in Loop: Header=BB2_3 Depth=1
	s_or_b64 exec, exec, s[18:19]
	s_waitcnt vmcnt(0)
	global_load_dwordx2 v[2:3], v[0:1], off offset:16
	s_waitcnt vmcnt(0)
	v_cmp_eq_u64_e32 vcc, 0, v[2:3]
	s_cbranch_vccnz .LBB2_75
; %bb.74:                               ;   in Loop: Header=BB2_3 Depth=1
	global_load_dword v30, v[0:1], off offset:24
	s_waitcnt vmcnt(0)
	v_and_b32_e32 v0, 0xffffff, v30
	v_readfirstlane_b32 m0, v0
	buffer_wbl2
	global_store_dwordx2 v[2:3], v[30:31], off
	s_sendmsg sendmsg(MSG_INTERRUPT)
.LBB2_75:                               ;   in Loop: Header=BB2_3 Depth=1
	s_or_b64 exec, exec, s[16:17]
	v_add_co_u32_e32 v0, vcc, v8, v26
	v_addc_co_u32_e32 v1, vcc, 0, v9, vcc
	s_branch .LBB2_79
.LBB2_76:                               ;   in Loop: Header=BB2_79 Depth=2
	s_or_b64 exec, exec, s[16:17]
	v_readfirstlane_b32 s16, v2
	s_cmp_eq_u32 s16, 0
	s_cbranch_scc1 .LBB2_78
; %bb.77:                               ;   in Loop: Header=BB2_79 Depth=2
	s_sleep 1
	s_cbranch_execnz .LBB2_79
	s_branch .LBB2_81
.LBB2_78:                               ;   in Loop: Header=BB2_3 Depth=1
	s_branch .LBB2_81
.LBB2_79:                               ;   Parent Loop BB2_3 Depth=1
                                        ; =>  This Inner Loop Header: Depth=2
	v_mov_b32_e32 v2, 1
	s_and_saveexec_b64 s[16:17], s[4:5]
	s_cbranch_execz .LBB2_76
; %bb.80:                               ;   in Loop: Header=BB2_79 Depth=2
	global_load_dword v2, v[36:37], off offset:20 glc
	s_waitcnt vmcnt(0)
	buffer_invl2
	buffer_wbinvl1_vol
	v_and_b32_e32 v2, 1, v2
	s_branch .LBB2_76
.LBB2_81:                               ;   in Loop: Header=BB2_3 Depth=1
	global_load_dwordx4 v[0:3], v[0:1], off
	s_and_saveexec_b64 s[16:17], s[4:5]
	s_cbranch_execz .LBB2_2
; %bb.82:                               ;   in Loop: Header=BB2_3 Depth=1
	global_load_dwordx2 v[2:3], v31, s[12:13] offset:40
	global_load_dwordx2 v[8:9], v31, s[12:13] offset:24 glc
	global_load_dwordx2 v[16:17], v31, s[12:13]
	v_mov_b32_e32 v13, s15
	s_waitcnt vmcnt(2)
	v_add_co_u32_e32 v15, vcc, 1, v2
	v_addc_co_u32_e32 v18, vcc, 0, v3, vcc
	v_add_co_u32_e32 v12, vcc, s14, v15
	v_addc_co_u32_e32 v13, vcc, v18, v13, vcc
	v_cmp_eq_u64_e32 vcc, 0, v[12:13]
	v_cndmask_b32_e32 v13, v13, v18, vcc
	v_cndmask_b32_e32 v12, v12, v15, vcc
	v_and_b32_e32 v3, v13, v3
	v_and_b32_e32 v2, v12, v2
	v_mul_lo_u32 v3, v3, 24
	v_mul_hi_u32 v15, v2, 24
	v_mul_lo_u32 v2, v2, 24
	v_add_u32_e32 v3, v15, v3
	s_waitcnt vmcnt(0)
	v_add_co_u32_e32 v2, vcc, v16, v2
	v_addc_co_u32_e32 v3, vcc, v17, v3, vcc
	v_mov_b32_e32 v14, v8
	global_store_dwordx2 v[2:3], v[8:9], off
	v_mov_b32_e32 v15, v9
	buffer_wbl2
	s_waitcnt vmcnt(0)
	global_atomic_cmpswap_x2 v[14:15], v31, v[12:15], s[12:13] offset:24 glc
	s_waitcnt vmcnt(0)
	v_cmp_ne_u64_e32 vcc, v[14:15], v[8:9]
	s_and_b64 exec, exec, vcc
	s_cbranch_execz .LBB2_2
; %bb.83:                               ;   in Loop: Header=BB2_3 Depth=1
	s_mov_b64 s[4:5], 0
.LBB2_84:                               ;   Parent Loop BB2_3 Depth=1
                                        ; =>  This Inner Loop Header: Depth=2
	s_sleep 1
	global_store_dwordx2 v[2:3], v[14:15], off
	buffer_wbl2
	s_waitcnt vmcnt(0)
	global_atomic_cmpswap_x2 v[8:9], v31, v[12:15], s[12:13] offset:24 glc
	s_waitcnt vmcnt(0)
	v_cmp_eq_u64_e32 vcc, v[8:9], v[14:15]
	s_or_b64 s[4:5], vcc, s[4:5]
	v_pk_mov_b32 v[14:15], v[8:9], v[8:9] op_sel:[0,1]
	s_andn2_b64 exec, exec, s[4:5]
	s_cbranch_execnz .LBB2_84
	s_branch .LBB2_2
.LBB2_85:
	s_or_b64 exec, exec, s[6:7]
                                        ; implicit-def: $vgpr3
                                        ; implicit-def: $vgpr2
.LBB2_86:
	s_andn2_saveexec_b64 s[6:7], s[10:11]
	s_cbranch_execz .LBB2_109
; %bb.87:
	s_load_dwordx2 s[8:9], s[8:9], 0x50
	s_waitcnt vmcnt(0)
	v_mbcnt_hi_u32_b32 v10, -1, v2
	v_readfirstlane_b32 s4, v10
	v_cmp_eq_u32_e64 s[4:5], s4, v10
	v_pk_mov_b32 v[8:9], 0, 0
	s_and_saveexec_b64 s[10:11], s[4:5]
	s_cbranch_execz .LBB2_93
; %bb.88:
	v_mov_b32_e32 v0, 0
	s_waitcnt lgkmcnt(0)
	global_load_dwordx2 v[6:7], v0, s[8:9] offset:24 glc
	s_waitcnt vmcnt(0)
	buffer_invl2
	buffer_wbinvl1_vol
	global_load_dwordx2 v[4:5], v0, s[8:9] offset:40
	global_load_dwordx2 v[8:9], v0, s[8:9]
	s_waitcnt vmcnt(1)
	v_and_b32_e32 v2, v4, v6
	v_and_b32_e32 v4, v5, v7
	v_mul_lo_u32 v4, v4, 24
	v_mul_hi_u32 v5, v2, 24
	v_mul_lo_u32 v2, v2, 24
	v_add_u32_e32 v5, v5, v4
	s_waitcnt vmcnt(0)
	v_add_co_u32_e32 v4, vcc, v8, v2
	v_addc_co_u32_e32 v5, vcc, v9, v5, vcc
	global_load_dwordx2 v[4:5], v[4:5], off glc
	s_waitcnt vmcnt(0)
	global_atomic_cmpswap_x2 v[8:9], v0, v[4:7], s[8:9] offset:24 glc
	s_waitcnt vmcnt(0)
	buffer_invl2
	buffer_wbinvl1_vol
	v_cmp_ne_u64_e32 vcc, v[8:9], v[6:7]
	s_and_saveexec_b64 s[12:13], vcc
	s_cbranch_execz .LBB2_92
; %bb.89:
	s_mov_b64 s[14:15], 0
.LBB2_90:                               ; =>This Inner Loop Header: Depth=1
	s_sleep 1
	global_load_dwordx2 v[4:5], v0, s[8:9] offset:40
	global_load_dwordx2 v[12:13], v0, s[8:9]
	v_pk_mov_b32 v[6:7], v[8:9], v[8:9] op_sel:[0,1]
	s_waitcnt vmcnt(1)
	v_and_b32_e32 v2, v4, v6
	v_and_b32_e32 v8, v5, v7
	s_waitcnt vmcnt(0)
	v_mad_u64_u32 v[4:5], s[16:17], v2, 24, v[12:13]
	v_mov_b32_e32 v2, v5
	v_mad_u64_u32 v[8:9], s[16:17], v8, 24, v[2:3]
	v_mov_b32_e32 v5, v8
	global_load_dwordx2 v[4:5], v[4:5], off glc
	s_waitcnt vmcnt(0)
	global_atomic_cmpswap_x2 v[8:9], v0, v[4:7], s[8:9] offset:24 glc
	s_waitcnt vmcnt(0)
	buffer_invl2
	buffer_wbinvl1_vol
	v_cmp_eq_u64_e32 vcc, v[8:9], v[6:7]
	s_or_b64 s[14:15], vcc, s[14:15]
	s_andn2_b64 exec, exec, s[14:15]
	s_cbranch_execnz .LBB2_90
; %bb.91:
	s_or_b64 exec, exec, s[14:15]
.LBB2_92:
	s_or_b64 exec, exec, s[12:13]
.LBB2_93:
	s_or_b64 exec, exec, s[10:11]
	v_mov_b32_e32 v2, 0
	s_waitcnt lgkmcnt(0)
	global_load_dwordx2 v[12:13], v2, s[8:9] offset:40
	global_load_dwordx4 v[4:7], v2, s[8:9]
	v_readfirstlane_b32 s10, v8
	v_readfirstlane_b32 s11, v9
	s_mov_b64 s[12:13], exec
	s_waitcnt vmcnt(1)
	v_readfirstlane_b32 s14, v12
	v_readfirstlane_b32 s15, v13
	s_and_b64 s[14:15], s[10:11], s[14:15]
	s_mul_i32 s16, s15, 24
	s_mul_hi_u32 s17, s14, 24
	s_mul_i32 s18, s14, 24
	s_add_i32 s16, s17, s16
	v_mov_b32_e32 v0, s16
	s_waitcnt vmcnt(0)
	v_add_co_u32_e32 v8, vcc, s18, v4
	v_addc_co_u32_e32 v9, vcc, v5, v0, vcc
	s_and_saveexec_b64 s[16:17], s[4:5]
	s_cbranch_execz .LBB2_95
; %bb.94:
	v_pk_mov_b32 v[12:13], s[12:13], s[12:13] op_sel:[0,1]
	v_mov_b32_e32 v14, 2
	v_mov_b32_e32 v15, 1
	global_store_dwordx4 v[8:9], v[12:15], off offset:8
.LBB2_95:
	s_or_b64 exec, exec, s[16:17]
	s_lshl_b64 s[12:13], s[14:15], 12
	v_mov_b32_e32 v0, s13
	v_add_co_u32_e32 v12, vcc, s12, v6
	s_movk_i32 s12, 0xff1f
	v_addc_co_u32_e32 v11, vcc, v7, v0, vcc
	v_and_or_b32 v0, v3, s12, 32
	s_mov_b32 s12, 0
	v_lshlrev_b32_e32 v10, 6, v10
	v_mov_b32_e32 v3, v2
	v_readfirstlane_b32 s16, v12
	v_readfirstlane_b32 s17, v11
	s_mov_b32 s13, s12
	v_add_co_u32_e32 v6, vcc, v12, v10
	s_mov_b32 s14, s12
	s_mov_b32 s15, s12
	s_nop 0
	global_store_dwordx4 v10, v[0:3], s[16:17]
	v_addc_co_u32_e32 v7, vcc, 0, v11, vcc
	v_pk_mov_b32 v[0:1], s[12:13], s[12:13] op_sel:[0,1]
	v_pk_mov_b32 v[2:3], s[14:15], s[14:15] op_sel:[0,1]
	global_store_dwordx4 v10, v[0:3], s[16:17] offset:16
	global_store_dwordx4 v10, v[0:3], s[16:17] offset:32
	;; [unrolled: 1-line block ×3, first 2 shown]
	s_and_saveexec_b64 s[12:13], s[4:5]
	s_cbranch_execz .LBB2_103
; %bb.96:
	v_mov_b32_e32 v10, 0
	global_load_dwordx2 v[14:15], v10, s[8:9] offset:32 glc
	global_load_dwordx2 v[0:1], v10, s[8:9] offset:40
	v_mov_b32_e32 v12, s10
	v_mov_b32_e32 v13, s11
	s_waitcnt vmcnt(0)
	v_and_b32_e32 v0, s10, v0
	v_and_b32_e32 v1, s11, v1
	v_mul_lo_u32 v1, v1, 24
	v_mul_hi_u32 v2, v0, 24
	v_mul_lo_u32 v0, v0, 24
	v_add_u32_e32 v1, v2, v1
	v_add_co_u32_e32 v4, vcc, v4, v0
	v_addc_co_u32_e32 v5, vcc, v5, v1, vcc
	global_store_dwordx2 v[4:5], v[14:15], off
	buffer_wbl2
	s_waitcnt vmcnt(0)
	global_atomic_cmpswap_x2 v[2:3], v10, v[12:15], s[8:9] offset:32 glc
	s_waitcnt vmcnt(0)
	v_cmp_ne_u64_e32 vcc, v[2:3], v[14:15]
	s_and_saveexec_b64 s[14:15], vcc
	s_cbranch_execz .LBB2_99
; %bb.97:
	s_mov_b64 s[16:17], 0
.LBB2_98:                               ; =>This Inner Loop Header: Depth=1
	s_sleep 1
	global_store_dwordx2 v[4:5], v[2:3], off
	v_mov_b32_e32 v0, s10
	v_mov_b32_e32 v1, s11
	buffer_wbl2
	s_waitcnt vmcnt(0)
	global_atomic_cmpswap_x2 v[0:1], v10, v[0:3], s[8:9] offset:32 glc
	s_waitcnt vmcnt(0)
	v_cmp_eq_u64_e32 vcc, v[0:1], v[2:3]
	s_or_b64 s[16:17], vcc, s[16:17]
	v_pk_mov_b32 v[2:3], v[0:1], v[0:1] op_sel:[0,1]
	s_andn2_b64 exec, exec, s[16:17]
	s_cbranch_execnz .LBB2_98
.LBB2_99:
	s_or_b64 exec, exec, s[14:15]
	v_mov_b32_e32 v3, 0
	global_load_dwordx2 v[0:1], v3, s[8:9] offset:16
	s_mov_b64 s[14:15], exec
	v_mbcnt_lo_u32_b32 v2, s14, 0
	v_mbcnt_hi_u32_b32 v2, s15, v2
	v_cmp_eq_u32_e32 vcc, 0, v2
	s_and_saveexec_b64 s[16:17], vcc
	s_cbranch_execz .LBB2_101
; %bb.100:
	s_bcnt1_i32_b64 s14, s[14:15]
	v_mov_b32_e32 v2, s14
	buffer_wbl2
	s_waitcnt vmcnt(0)
	global_atomic_add_x2 v[0:1], v[2:3], off offset:8
.LBB2_101:
	s_or_b64 exec, exec, s[16:17]
	s_waitcnt vmcnt(0)
	global_load_dwordx2 v[2:3], v[0:1], off offset:16
	s_waitcnt vmcnt(0)
	v_cmp_eq_u64_e32 vcc, 0, v[2:3]
	s_cbranch_vccnz .LBB2_103
; %bb.102:
	global_load_dword v0, v[0:1], off offset:24
	v_mov_b32_e32 v1, 0
	buffer_wbl2
	s_waitcnt vmcnt(0)
	global_store_dwordx2 v[2:3], v[0:1], off
	v_and_b32_e32 v0, 0xffffff, v0
	v_readfirstlane_b32 m0, v0
	s_sendmsg sendmsg(MSG_INTERRUPT)
.LBB2_103:
	s_or_b64 exec, exec, s[12:13]
	s_branch .LBB2_107
.LBB2_104:                              ;   in Loop: Header=BB2_107 Depth=1
	s_or_b64 exec, exec, s[12:13]
	v_readfirstlane_b32 s12, v0
	s_cmp_eq_u32 s12, 0
	s_cbranch_scc1 .LBB2_106
; %bb.105:                              ;   in Loop: Header=BB2_107 Depth=1
	s_sleep 1
	s_cbranch_execnz .LBB2_107
	s_branch .LBB2_110
.LBB2_106:
	s_branch .LBB2_110
.LBB2_107:                              ; =>This Inner Loop Header: Depth=1
	v_mov_b32_e32 v0, 1
	s_and_saveexec_b64 s[12:13], s[4:5]
	s_cbranch_execz .LBB2_104
; %bb.108:                              ;   in Loop: Header=BB2_107 Depth=1
	global_load_dword v0, v[8:9], off offset:20 glc
	s_waitcnt vmcnt(0)
	buffer_invl2
	buffer_wbinvl1_vol
	v_and_b32_e32 v0, 1, v0
	s_branch .LBB2_104
.LBB2_109:
	s_or_b64 exec, exec, s[6:7]
	s_waitcnt vmcnt(0) lgkmcnt(0)
	s_setpc_b64 s[30:31]
.LBB2_110:
	global_load_dwordx2 v[0:1], v[6:7], off
	s_and_saveexec_b64 s[12:13], s[4:5]
	s_cbranch_execz .LBB2_113
; %bb.111:
	v_mov_b32_e32 v8, 0
	global_load_dwordx2 v[6:7], v8, s[8:9] offset:40
	global_load_dwordx2 v[10:11], v8, s[8:9] offset:24 glc
	global_load_dwordx2 v[12:13], v8, s[8:9]
	v_mov_b32_e32 v3, s11
	s_mov_b64 s[4:5], 0
	s_waitcnt vmcnt(2)
	v_add_co_u32_e32 v5, vcc, 1, v6
	v_addc_co_u32_e32 v9, vcc, 0, v7, vcc
	v_add_co_u32_e32 v2, vcc, s10, v5
	v_addc_co_u32_e32 v3, vcc, v9, v3, vcc
	v_cmp_eq_u64_e32 vcc, 0, v[2:3]
	v_cndmask_b32_e32 v3, v3, v9, vcc
	v_cndmask_b32_e32 v2, v2, v5, vcc
	v_and_b32_e32 v5, v3, v7
	v_and_b32_e32 v6, v2, v6
	v_mul_lo_u32 v5, v5, 24
	v_mul_hi_u32 v7, v6, 24
	v_mul_lo_u32 v6, v6, 24
	v_add_u32_e32 v5, v7, v5
	s_waitcnt vmcnt(0)
	v_add_co_u32_e32 v6, vcc, v12, v6
	v_addc_co_u32_e32 v7, vcc, v13, v5, vcc
	v_mov_b32_e32 v4, v10
	global_store_dwordx2 v[6:7], v[10:11], off
	v_mov_b32_e32 v5, v11
	buffer_wbl2
	s_waitcnt vmcnt(0)
	global_atomic_cmpswap_x2 v[4:5], v8, v[2:5], s[8:9] offset:24 glc
	s_waitcnt vmcnt(0)
	v_cmp_ne_u64_e32 vcc, v[4:5], v[10:11]
	s_and_b64 exec, exec, vcc
	s_cbranch_execz .LBB2_113
.LBB2_112:                              ; =>This Inner Loop Header: Depth=1
	s_sleep 1
	global_store_dwordx2 v[6:7], v[4:5], off
	buffer_wbl2
	s_waitcnt vmcnt(0)
	global_atomic_cmpswap_x2 v[10:11], v8, v[2:5], s[8:9] offset:24 glc
	s_waitcnt vmcnt(0)
	v_cmp_eq_u64_e32 vcc, v[10:11], v[4:5]
	s_or_b64 s[4:5], vcc, s[4:5]
	v_pk_mov_b32 v[4:5], v[10:11], v[10:11] op_sel:[0,1]
	s_andn2_b64 exec, exec, s[4:5]
	s_cbranch_execnz .LBB2_112
.LBB2_113:
	s_or_b64 exec, exec, s[12:13]
	s_or_b64 exec, exec, s[6:7]
	s_waitcnt vmcnt(0) lgkmcnt(0)
	s_setpc_b64 s[30:31]
.Lfunc_end2:
	.size	__ockl_printf_append_string_n, .Lfunc_end2-__ockl_printf_append_string_n
                                        ; -- End function
	.section	.AMDGPU.csdata,"",@progbits
; Function info:
; codeLenInByte = 4376
; NumSgprs: 36
; NumVgprs: 38
; NumAgprs: 0
; TotalNumVgprs: 38
; ScratchSize: 0
; MemoryBound: 0
	.text
	.p2align	2                               ; -- Begin function _ZN19hipPrintfStressTest10startPrintEjjPjS0_
	.type	_ZN19hipPrintfStressTest10startPrintEjjPjS0_,@function
_ZN19hipPrintfStressTest10startPrintEjjPjS0_: ; @_ZN19hipPrintfStressTest10startPrintEjjPjS0_
; %bb.0:
	s_waitcnt vmcnt(0) expcnt(0) lgkmcnt(0)
	s_mov_b32 s4, s33
	s_mov_b32 s33, s32
	s_or_saveexec_b64 s[6:7], -1
	buffer_store_dword v58, off, s[0:3], s33 ; 4-byte Folded Spill
	s_mov_b64 exec, s[6:7]
	v_writelane_b32 v58, s4, 42
	v_accvgpr_write_b32 a0, v40             ;  Reload Reuse
	s_addk_i32 s32, 0x400
	v_accvgpr_write_b32 a1, v41             ;  Reload Reuse
	v_accvgpr_write_b32 a2, v42             ;  Reload Reuse
	;; [unrolled: 1-line block ×9, first 2 shown]
	v_writelane_b32 v58, s34, 0
	v_writelane_b32 v58, s35, 1
	;; [unrolled: 1-line block ×42, first 2 shown]
	v_mov_b32_e32 v33, v1
	v_mov_b32_e32 v50, v0
	s_mov_b32 s28, 0
	v_cmp_ne_u32_e32 vcc, 0, v33
	s_and_saveexec_b64 s[34:35], vcc
	s_cbranch_execz .LBB3_1576
; %bb.1:
	s_mov_b32 s4, 0x24924925
	v_mul_hi_u32 v0, v50, s4
	s_getpc_b64 s[4:5]
	s_add_u32 s4, s4, .str.5@rel32@lo+4
	s_addc_u32 s5, s5, .str.5@rel32@hi+12
	s_cmp_lg_u64 s[4:5], 0
	s_cselect_b64 s[38:39], -1, 0
	s_getpc_b64 s[4:5]
	s_add_u32 s4, s4, .str.4@rel32@lo+4
	s_addc_u32 s5, s5, .str.4@rel32@hi+12
	s_cmp_lg_u64 s[4:5], 0
	s_cselect_b64 s[40:41], -1, 0
	;; [unrolled: 5-line block ×3, first 2 shown]
	s_getpc_b64 s[4:5]
	s_add_u32 s4, s4, .str@rel32@lo+4
	s_addc_u32 s5, s5, .str@rel32@hi+12
	s_cmp_lg_u64 s[4:5], 0
	s_cselect_b64 s[44:45], -1, 0
	s_getpc_b64 s[4:5]
	s_add_u32 s4, s4, .str.2@rel32@lo+4
	s_addc_u32 s5, s5, .str.2@rel32@hi+12
	s_cmp_lg_u64 s[4:5], 0
	s_cselect_b64 s[46:47], -1, 0
	s_getpc_b64 s[4:5]
	s_add_u32 s4, s4, .str.1@rel32@lo+4
	s_addc_u32 s5, s5, .str.1@rel32@hi+12
	;; [unrolled: 5-line block ×3, first 2 shown]
	v_sub_u32_e32 v1, v50, v0
	s_getpc_b64 s[6:7]
	s_add_u32 s6, s6, .str.14@rel32@lo+4
	s_addc_u32 s7, s7, .str.14@rel32@hi+12
	s_mov_b64 s[26:27], s[8:9]
	v_lshrrev_b32_e32 v1, 1, v1
	s_getpc_b64 s[8:9]
	s_add_u32 s8, s8, .str.13@rel32@lo+4
	s_addc_u32 s9, s9, .str.13@rel32@hi+12
	v_add_u32_e32 v0, v1, v0
	s_getpc_b64 s[10:11]
	s_add_u32 s10, s10, .str.15@rel32@lo+4
	s_addc_u32 s11, s11, .str.15@rel32@hi+12
	v_lshrrev_b32_e32 v0, 2, v0
	s_getpc_b64 s[12:13]
	s_add_u32 s12, s12, .str.16@rel32@lo+4
	s_addc_u32 s13, s13, .str.16@rel32@hi+12
	v_mul_lo_u32 v0, v0, 7
	v_mov_b32_e32 v51, 0
	s_getpc_b64 s[14:15]
	s_add_u32 s14, s14, .str.17@rel32@lo+4
	s_addc_u32 s15, s15, .str.17@rel32@hi+12
	v_sub_u32_e32 v56, v50, v0
	v_lshlrev_b64 v[0:1], 2, v[50:51]
	s_getpc_b64 s[16:17]
	s_add_u32 s16, s16, .str.18@rel32@lo+4
	s_addc_u32 s17, s17, .str.18@rel32@hi+12
	v_add_co_u32_e32 v44, vcc, v2, v0
	s_getpc_b64 s[18:19]
	s_add_u32 s18, s18, .str.19@rel32@lo+4
	s_addc_u32 s19, s19, .str.19@rel32@hi+12
	v_addc_co_u32_e32 v45, vcc, v3, v1, vcc
	s_getpc_b64 s[20:21]
	s_add_u32 s20, s20, .str.20@rel32@lo+4
	s_addc_u32 s21, s21, .str.20@rel32@hi+12
	v_add_co_u32_e32 v46, vcc, v4, v0
	s_getpc_b64 s[22:23]
	s_add_u32 s22, s22, .str.21@rel32@lo+4
	s_addc_u32 s23, s23, .str.21@rel32@hi+12
	v_addc_co_u32_e32 v47, vcc, v5, v1, vcc
	s_getpc_b64 s[24:25]
	s_add_u32 s24, s24, .str.22@rel32@lo+4
	s_addc_u32 s25, s25, .str.22@rel32@hi+12
	s_getpc_b64 vcc
	s_add_u32 vcc_lo, vcc_lo, .str.23@rel32@lo+4
	s_addc_u32 vcc_hi, vcc_hi, .str.23@rel32@hi+12
	s_getpc_b64 s[30:31]
	s_add_u32 s30, s30, .str.24@rel32@lo+4
	s_addc_u32 s31, s31, .str.24@rel32@hi+12
	s_getpc_b64 s[50:51]
	s_add_u32 s50, s50, .str.25@rel32@lo+4
	s_addc_u32 s51, s51, .str.25@rel32@hi+12
	s_cmp_lg_u64 s[4:5], 0
	s_cselect_b32 s58, 23, 0
	s_cmp_lg_u64 s[6:7], 0
	s_cselect_b32 s59, 31, 0
	;; [unrolled: 2-line block ×11, first 2 shown]
	s_cmp_lg_u64 vcc, 0
	s_cselect_b32 s69, 60, 0
	s_cmp_lg_u64 s[30:31], 0
	s_cselect_b32 s70, 60, 0
	s_cmp_lg_u64 s[50:51], 0
	s_cselect_b64 s[4:5], -1, 0
	v_cndmask_b32_e64 v0, 0, 1, s[4:5]
	v_lshlrev_b32_e32 v38, 4, v0
	v_mbcnt_lo_u32_b32 v0, -1, 0
	v_pk_mov_b32 v[54:55], v[50:51], v[50:51] op_sel:[0,1]
	s_mov_b64 s[36:37], 0
	s_movk_i32 s71, 0xff1f
	v_mov_b32_e32 v43, 1
	s_movk_i32 s72, 0xff1d
	v_mbcnt_hi_u32_b32 v57, -1, v0
	v_mov_b32_e32 v42, 2
	v_mov_b32_e32 v48, 33
	;; [unrolled: 1-line block ×3, first 2 shown]
	s_mov_b32 s73, 0
	s_branch .LBB3_3
.LBB3_2:                                ;   in Loop: Header=BB3_3 Depth=1
	s_mov_b64 s[8:9], s[26:27]
	s_getpc_b64 s[54:55]
	s_add_u32 s54, s54, __ockl_printf_begin@rel32@lo+4
	s_addc_u32 s55, s55, __ockl_printf_begin@rel32@hi+12
	s_swappc_b64 s[30:31], s[54:55]
	s_getpc_b64 s[4:5]
	s_add_u32 s4, s4, .str.14@rel32@lo+4
	s_addc_u32 s5, s5, .str.14@rel32@hi+12
	s_mov_b64 s[8:9], s[26:27]
	v_mov_b32_e32 v2, s4
	v_mov_b32_e32 v3, s5
	;; [unrolled: 1-line block ×4, first 2 shown]
	s_swappc_b64 s[30:31], s[52:53]
	s_getpc_b64 s[56:57]
	s_add_u32 s56, s56, .str.13@rel32@lo+4
	s_addc_u32 s57, s57, .str.13@rel32@hi+12
	s_mov_b64 s[8:9], s[26:27]
	v_mov_b32_e32 v2, s56
	v_mov_b32_e32 v3, s57
	v_mov_b32_e32 v4, s60
	v_mov_b32_e32 v5, v51
	s_swappc_b64 s[30:31], s[52:53]
	s_mov_b64 s[8:9], s[26:27]
	v_mov_b32_e32 v2, 0xf8a432eb
	v_mov_b32_e32 v3, v51
	v_mov_b32_e32 v4, v51
	s_swappc_b64 s[30:31], s[50:51]
	s_mov_b64 s[8:9], s[26:27]
	v_mov_b32_e32 v2, s56
	v_mov_b32_e32 v3, s57
	v_mov_b32_e32 v4, s60
	v_mov_b32_e32 v5, v51
	s_swappc_b64 s[30:31], s[52:53]
	s_mov_b64 s[8:9], s[26:27]
	v_mov_b32_e32 v2, 0x75bcd15
	v_mov_b32_e32 v3, v51
	v_mov_b32_e32 v4, v51
	s_swappc_b64 s[30:31], s[50:51]
	;; [unrolled: 11-line block ×5, first 2 shown]
	s_mov_b64 s[8:9], s[26:27]
	v_mov_b32_e32 v39, v0
	s_swappc_b64 s[30:31], s[54:55]
	s_getpc_b64 s[56:57]
	s_add_u32 s56, s56, .str.15@rel32@lo+4
	s_addc_u32 s57, s57, .str.15@rel32@hi+12
	s_mov_b64 s[8:9], s[26:27]
	v_mov_b32_e32 v2, s56
	v_mov_b32_e32 v3, s57
	v_mov_b32_e32 v4, s61
	v_mov_b32_e32 v5, v51
	s_swappc_b64 s[30:31], s[52:53]
	s_mov_b64 s[8:9], s[26:27]
	v_bfrev_b32_e32 v2, 7
	v_mov_b32_e32 v3, 0x47efffff
	v_mov_b32_e32 v4, v51
	s_swappc_b64 s[30:31], s[50:51]
	s_mov_b64 s[8:9], s[26:27]
	v_mov_b32_e32 v2, v51
	v_mov_b32_e32 v3, 0x38100000
	;; [unrolled: 1-line block ×3, first 2 shown]
	s_swappc_b64 s[30:31], s[50:51]
	s_mov_b64 s[8:9], s[26:27]
	v_bfrev_b32_e32 v2, 7
	v_mov_b32_e32 v3, 0x47efffff
	v_mov_b32_e32 v4, v51
	s_swappc_b64 s[30:31], s[50:51]
	s_mov_b64 s[8:9], s[26:27]
	v_mov_b32_e32 v2, v51
	v_mov_b32_e32 v3, 0x38100000
	;; [unrolled: 1-line block ×3, first 2 shown]
	s_swappc_b64 s[30:31], s[50:51]
	s_mov_b64 s[8:9], s[26:27]
	v_add3_u32 v49, v49, v39, v0
	s_swappc_b64 s[30:31], s[54:55]
	s_mov_b64 s[8:9], s[26:27]
	v_mov_b32_e32 v2, s56
	v_mov_b32_e32 v3, s57
	;; [unrolled: 1-line block ×4, first 2 shown]
	s_swappc_b64 s[30:31], s[52:53]
	s_mov_b64 s[8:9], s[26:27]
	v_mov_b32_e32 v2, -1
	v_mov_b32_e32 v3, 0x7fefffff
	v_mov_b32_e32 v4, v51
	s_swappc_b64 s[30:31], s[50:51]
	s_mov_b64 s[8:9], s[26:27]
	v_mov_b32_e32 v2, v51
	v_mov_b32_e32 v3, 0x100000
	;; [unrolled: 1-line block ×3, first 2 shown]
	s_swappc_b64 s[30:31], s[50:51]
	s_mov_b64 s[8:9], s[26:27]
	v_mov_b32_e32 v2, -1
	v_mov_b32_e32 v3, 0x7fefffff
	v_mov_b32_e32 v4, v51
	s_swappc_b64 s[30:31], s[50:51]
	s_mov_b64 s[8:9], s[26:27]
	v_mov_b32_e32 v2, v51
	v_mov_b32_e32 v3, 0x100000
	;; [unrolled: 1-line block ×3, first 2 shown]
	s_swappc_b64 s[30:31], s[50:51]
	s_mov_b64 s[8:9], s[26:27]
	v_mov_b32_e32 v39, v0
	s_swappc_b64 s[30:31], s[54:55]
	s_getpc_b64 s[56:57]
	s_add_u32 s56, s56, .str.16@rel32@lo+4
	s_addc_u32 s57, s57, .str.16@rel32@hi+12
	s_mov_b64 s[8:9], s[26:27]
	v_mov_b32_e32 v2, s56
	v_mov_b32_e32 v3, s57
	;; [unrolled: 1-line block ×4, first 2 shown]
	s_swappc_b64 s[30:31], s[52:53]
	s_mov_b64 s[8:9], s[26:27]
	v_bfrev_b32_e32 v2, 7
	v_mov_b32_e32 v3, 0x47efffff
	v_mov_b32_e32 v4, v51
	s_swappc_b64 s[30:31], s[50:51]
	s_mov_b64 s[8:9], s[26:27]
	v_mov_b32_e32 v2, v51
	v_mov_b32_e32 v3, 0x38100000
	v_mov_b32_e32 v4, v51
	s_swappc_b64 s[30:31], s[50:51]
	s_mov_b64 s[8:9], s[26:27]
	v_bfrev_b32_e32 v2, 7
	v_mov_b32_e32 v3, 0x47efffff
	v_mov_b32_e32 v4, v51
	s_swappc_b64 s[30:31], s[50:51]
	s_mov_b64 s[8:9], s[26:27]
	v_mov_b32_e32 v2, v51
	v_mov_b32_e32 v3, 0x38100000
	v_mov_b32_e32 v4, 1
	s_swappc_b64 s[30:31], s[50:51]
	s_mov_b64 s[8:9], s[26:27]
	v_add3_u32 v49, v49, v39, v0
	s_swappc_b64 s[30:31], s[54:55]
	s_mov_b64 s[8:9], s[26:27]
	v_mov_b32_e32 v2, s56
	v_mov_b32_e32 v3, s57
	v_mov_b32_e32 v4, s62
	v_mov_b32_e32 v5, v51
	s_swappc_b64 s[30:31], s[52:53]
	s_mov_b64 s[8:9], s[26:27]
	v_mov_b32_e32 v2, -1
	v_mov_b32_e32 v3, 0x7fefffff
	v_mov_b32_e32 v4, v51
	s_swappc_b64 s[30:31], s[50:51]
	s_mov_b64 s[8:9], s[26:27]
	v_mov_b32_e32 v2, v51
	v_mov_b32_e32 v3, 0x100000
	;; [unrolled: 1-line block ×3, first 2 shown]
	s_swappc_b64 s[30:31], s[50:51]
	s_mov_b64 s[8:9], s[26:27]
	v_mov_b32_e32 v2, -1
	v_mov_b32_e32 v3, 0x7fefffff
	v_mov_b32_e32 v4, v51
	s_swappc_b64 s[30:31], s[50:51]
	s_mov_b64 s[8:9], s[26:27]
	v_mov_b32_e32 v2, v51
	v_mov_b32_e32 v3, 0x100000
	;; [unrolled: 1-line block ×3, first 2 shown]
	s_swappc_b64 s[30:31], s[50:51]
	s_mov_b64 s[8:9], s[26:27]
	v_mov_b32_e32 v39, v0
	s_swappc_b64 s[30:31], s[54:55]
	s_getpc_b64 s[4:5]
	s_add_u32 s4, s4, .str.17@rel32@lo+4
	s_addc_u32 s5, s5, .str.17@rel32@hi+12
	s_mov_b64 s[8:9], s[26:27]
	v_mov_b32_e32 v2, s4
	v_mov_b32_e32 v3, s5
	v_mov_b32_e32 v4, s63
	v_mov_b32_e32 v5, v51
	s_swappc_b64 s[30:31], s[52:53]
	s_mov_b64 s[8:9], s[26:27]
	v_mov_b32_e32 v2, -1
	v_mov_b32_e32 v3, -1
	v_mov_b32_e32 v4, v51
	s_swappc_b64 s[30:31], s[50:51]
	s_mov_b64 s[8:9], s[26:27]
	v_mov_b32_e32 v2, v51
	v_mov_b32_e32 v3, v51
	;; [unrolled: 1-line block ×3, first 2 shown]
	s_swappc_b64 s[30:31], s[50:51]
	s_mov_b64 s[8:9], s[26:27]
	v_mov_b32_e32 v2, -1
	v_bfrev_b32_e32 v3, -2
	v_mov_b32_e32 v4, v51
	s_swappc_b64 s[30:31], s[50:51]
	s_mov_b64 s[8:9], s[26:27]
	v_mov_b32_e32 v2, v51
	v_bfrev_b32_e32 v3, 1
	v_mov_b32_e32 v4, v51
	s_swappc_b64 s[30:31], s[50:51]
	s_mov_b64 s[8:9], s[26:27]
	v_mov_b32_e32 v2, -1
	v_mov_b32_e32 v3, -1
	v_mov_b32_e32 v4, v51
	s_swappc_b64 s[30:31], s[50:51]
	s_mov_b64 s[8:9], s[26:27]
	v_mov_b32_e32 v2, v51
	v_mov_b32_e32 v3, v51
	;; [unrolled: 1-line block ×3, first 2 shown]
	s_swappc_b64 s[30:31], s[50:51]
	s_mov_b64 s[8:9], s[26:27]
	v_mov_b32_e32 v2, -1
	v_bfrev_b32_e32 v3, -2
	v_mov_b32_e32 v4, v51
	s_swappc_b64 s[30:31], s[50:51]
	s_mov_b64 s[8:9], s[26:27]
	v_mov_b32_e32 v2, v51
	v_bfrev_b32_e32 v3, 1
	v_mov_b32_e32 v4, v51
	s_swappc_b64 s[30:31], s[50:51]
	s_mov_b64 s[8:9], s[26:27]
	v_mov_b32_e32 v2, -1
	v_mov_b32_e32 v3, -1
	v_mov_b32_e32 v4, v51
	s_swappc_b64 s[30:31], s[50:51]
	s_mov_b64 s[8:9], s[26:27]
	v_mov_b32_e32 v2, v51
	v_mov_b32_e32 v3, v51
	;; [unrolled: 1-line block ×3, first 2 shown]
	s_swappc_b64 s[30:31], s[50:51]
	s_mov_b64 s[8:9], s[26:27]
	v_add3_u32 v49, v49, v39, v0
	s_swappc_b64 s[30:31], s[54:55]
	s_getpc_b64 s[4:5]
	s_add_u32 s4, s4, .str.18@rel32@lo+4
	s_addc_u32 s5, s5, .str.18@rel32@hi+12
	s_mov_b64 s[8:9], s[26:27]
	v_mov_b32_e32 v2, s4
	v_mov_b32_e32 v3, s5
	;; [unrolled: 1-line block ×4, first 2 shown]
	s_swappc_b64 s[30:31], s[52:53]
	s_mov_b64 s[8:9], s[26:27]
	v_mov_b32_e32 v2, -1
	v_mov_b32_e32 v3, -1
	v_mov_b32_e32 v4, v51
	s_swappc_b64 s[30:31], s[50:51]
	s_mov_b64 s[8:9], s[26:27]
	v_mov_b32_e32 v2, v51
	v_mov_b32_e32 v3, v51
	;; [unrolled: 1-line block ×3, first 2 shown]
	s_swappc_b64 s[30:31], s[50:51]
	s_mov_b64 s[8:9], s[26:27]
	v_mov_b32_e32 v2, -1
	v_bfrev_b32_e32 v3, -2
	v_mov_b32_e32 v4, v51
	s_swappc_b64 s[30:31], s[50:51]
	s_mov_b64 s[8:9], s[26:27]
	v_mov_b32_e32 v2, v51
	v_bfrev_b32_e32 v3, 1
	v_mov_b32_e32 v4, v51
	s_swappc_b64 s[30:31], s[50:51]
	s_mov_b64 s[8:9], s[26:27]
	v_mov_b32_e32 v2, -1
	v_mov_b32_e32 v3, -1
	v_mov_b32_e32 v4, v51
	s_swappc_b64 s[30:31], s[50:51]
	s_mov_b64 s[8:9], s[26:27]
	v_mov_b32_e32 v2, v51
	v_mov_b32_e32 v3, v51
	;; [unrolled: 1-line block ×3, first 2 shown]
	s_swappc_b64 s[30:31], s[50:51]
	s_mov_b64 s[8:9], s[26:27]
	v_mov_b32_e32 v2, -1
	v_bfrev_b32_e32 v3, -2
	v_mov_b32_e32 v4, v51
	s_swappc_b64 s[30:31], s[50:51]
	s_mov_b64 s[8:9], s[26:27]
	v_mov_b32_e32 v2, v51
	v_bfrev_b32_e32 v3, 1
	v_mov_b32_e32 v4, v51
	s_swappc_b64 s[30:31], s[50:51]
	s_mov_b64 s[8:9], s[26:27]
	v_mov_b32_e32 v2, -1
	v_mov_b32_e32 v3, -1
	v_mov_b32_e32 v4, v51
	s_swappc_b64 s[30:31], s[50:51]
	s_mov_b64 s[8:9], s[26:27]
	v_mov_b32_e32 v2, v51
	v_mov_b32_e32 v3, v51
	;; [unrolled: 1-line block ×3, first 2 shown]
	s_swappc_b64 s[30:31], s[50:51]
	s_mov_b64 s[8:9], s[26:27]
	v_mov_b32_e32 v39, v0
	s_swappc_b64 s[30:31], s[54:55]
	s_getpc_b64 s[4:5]
	s_add_u32 s4, s4, .str.19@rel32@lo+4
	s_addc_u32 s5, s5, .str.19@rel32@hi+12
	s_mov_b64 s[8:9], s[26:27]
	v_mov_b32_e32 v2, s4
	v_mov_b32_e32 v3, s5
	;; [unrolled: 1-line block ×4, first 2 shown]
	s_swappc_b64 s[30:31], s[52:53]
	s_mov_b64 s[8:9], s[26:27]
	v_mov_b32_e32 v2, -1
	v_mov_b32_e32 v3, -1
	v_mov_b32_e32 v4, v51
	s_swappc_b64 s[30:31], s[50:51]
	s_mov_b64 s[8:9], s[26:27]
	v_mov_b32_e32 v2, v51
	v_mov_b32_e32 v3, v51
	;; [unrolled: 1-line block ×3, first 2 shown]
	s_swappc_b64 s[30:31], s[50:51]
	s_mov_b64 s[8:9], s[26:27]
	v_mov_b32_e32 v2, -1
	v_bfrev_b32_e32 v3, -2
	v_mov_b32_e32 v4, v51
	s_swappc_b64 s[30:31], s[50:51]
	s_mov_b64 s[8:9], s[26:27]
	v_mov_b32_e32 v2, v51
	v_bfrev_b32_e32 v3, 1
	v_mov_b32_e32 v4, v51
	s_swappc_b64 s[30:31], s[50:51]
	s_mov_b64 s[8:9], s[26:27]
	v_mov_b32_e32 v2, -1
	v_mov_b32_e32 v3, -1
	v_mov_b32_e32 v4, v51
	s_swappc_b64 s[30:31], s[50:51]
	s_mov_b64 s[8:9], s[26:27]
	v_mov_b32_e32 v2, v51
	v_mov_b32_e32 v3, v51
	;; [unrolled: 1-line block ×3, first 2 shown]
	s_swappc_b64 s[30:31], s[50:51]
	s_mov_b64 s[8:9], s[26:27]
	v_mov_b32_e32 v2, -1
	v_bfrev_b32_e32 v3, -2
	v_mov_b32_e32 v4, v51
	s_swappc_b64 s[30:31], s[50:51]
	s_mov_b64 s[8:9], s[26:27]
	v_mov_b32_e32 v2, v51
	v_bfrev_b32_e32 v3, 1
	v_mov_b32_e32 v4, v51
	s_swappc_b64 s[30:31], s[50:51]
	s_mov_b64 s[8:9], s[26:27]
	v_mov_b32_e32 v2, -1
	v_mov_b32_e32 v3, -1
	v_mov_b32_e32 v4, v51
	s_swappc_b64 s[30:31], s[50:51]
	s_mov_b64 s[8:9], s[26:27]
	v_mov_b32_e32 v2, v51
	v_mov_b32_e32 v3, v51
	;; [unrolled: 1-line block ×3, first 2 shown]
	s_swappc_b64 s[30:31], s[50:51]
	s_mov_b64 s[8:9], s[26:27]
	v_add3_u32 v49, v49, v39, v0
	s_swappc_b64 s[30:31], s[54:55]
	s_getpc_b64 s[4:5]
	s_add_u32 s4, s4, .str.20@rel32@lo+4
	s_addc_u32 s5, s5, .str.20@rel32@hi+12
	s_mov_b64 s[8:9], s[26:27]
	v_mov_b32_e32 v2, s4
	v_mov_b32_e32 v3, s5
	;; [unrolled: 1-line block ×4, first 2 shown]
	s_swappc_b64 s[30:31], s[52:53]
	s_mov_b64 s[8:9], s[26:27]
	v_mov_b32_e32 v2, -1
	v_mov_b32_e32 v3, -1
	v_mov_b32_e32 v4, v51
	s_swappc_b64 s[30:31], s[50:51]
	s_mov_b64 s[8:9], s[26:27]
	v_mov_b32_e32 v2, v51
	v_mov_b32_e32 v3, v51
	;; [unrolled: 1-line block ×3, first 2 shown]
	s_swappc_b64 s[30:31], s[50:51]
	s_mov_b64 s[8:9], s[26:27]
	v_mov_b32_e32 v2, -1
	v_bfrev_b32_e32 v3, -2
	v_mov_b32_e32 v4, v51
	s_swappc_b64 s[30:31], s[50:51]
	s_mov_b64 s[8:9], s[26:27]
	v_mov_b32_e32 v2, v51
	v_bfrev_b32_e32 v3, 1
	v_mov_b32_e32 v4, v51
	s_swappc_b64 s[30:31], s[50:51]
	s_mov_b64 s[8:9], s[26:27]
	v_mov_b32_e32 v2, -1
	v_mov_b32_e32 v3, -1
	v_mov_b32_e32 v4, v51
	s_swappc_b64 s[30:31], s[50:51]
	s_mov_b64 s[8:9], s[26:27]
	v_mov_b32_e32 v2, v51
	v_mov_b32_e32 v3, v51
	v_mov_b32_e32 v4, v51
	s_swappc_b64 s[30:31], s[50:51]
	s_mov_b64 s[8:9], s[26:27]
	v_mov_b32_e32 v2, -1
	v_bfrev_b32_e32 v3, -2
	v_mov_b32_e32 v4, v51
	s_swappc_b64 s[30:31], s[50:51]
	s_mov_b64 s[8:9], s[26:27]
	v_mov_b32_e32 v2, v51
	v_bfrev_b32_e32 v3, 1
	v_mov_b32_e32 v4, v51
	s_swappc_b64 s[30:31], s[50:51]
	s_mov_b64 s[8:9], s[26:27]
	v_mov_b32_e32 v2, -1
	v_mov_b32_e32 v3, -1
	v_mov_b32_e32 v4, v51
	s_swappc_b64 s[30:31], s[50:51]
	s_mov_b64 s[8:9], s[26:27]
	v_mov_b32_e32 v2, v51
	v_mov_b32_e32 v3, v51
	;; [unrolled: 1-line block ×3, first 2 shown]
	s_swappc_b64 s[30:31], s[50:51]
	s_mov_b64 s[8:9], s[26:27]
	v_mov_b32_e32 v39, v0
	s_swappc_b64 s[30:31], s[54:55]
	s_getpc_b64 s[4:5]
	s_add_u32 s4, s4, .str.21@rel32@lo+4
	s_addc_u32 s5, s5, .str.21@rel32@hi+12
	s_mov_b64 s[8:9], s[26:27]
	v_mov_b32_e32 v2, s4
	v_mov_b32_e32 v3, s5
	;; [unrolled: 1-line block ×4, first 2 shown]
	s_swappc_b64 s[30:31], s[52:53]
	s_mov_b64 s[8:9], s[26:27]
	v_mov_b32_e32 v2, 0x7fff
	v_mov_b32_e32 v3, v51
	v_mov_b32_e32 v4, v51
	s_swappc_b64 s[30:31], s[50:51]
	s_mov_b64 s[8:9], s[26:27]
	v_mov_b32_e32 v2, 0xffff8000
	v_mov_b32_e32 v3, v51
	v_mov_b32_e32 v4, v51
	;; [unrolled: 5-line block ×8, first 2 shown]
	s_swappc_b64 s[30:31], s[50:51]
	s_mov_b64 s[8:9], s[26:27]
	v_bfrev_b32_e32 v2, -2
	v_mov_b32_e32 v3, v51
	v_mov_b32_e32 v4, v51
	s_swappc_b64 s[30:31], s[50:51]
	s_mov_b64 s[8:9], s[26:27]
	v_bfrev_b32_e32 v2, 1
	v_mov_b32_e32 v3, v51
	v_mov_b32_e32 v4, v51
	s_swappc_b64 s[30:31], s[50:51]
	s_mov_b64 s[8:9], s[26:27]
	v_mov_b32_e32 v2, -1
	v_mov_b32_e32 v3, v51
	v_mov_b32_e32 v4, v51
	s_swappc_b64 s[30:31], s[50:51]
	s_mov_b64 s[8:9], s[26:27]
	v_mov_b32_e32 v2, v51
	v_mov_b32_e32 v3, v51
	;; [unrolled: 1-line block ×3, first 2 shown]
	s_swappc_b64 s[30:31], s[50:51]
	s_mov_b64 s[8:9], s[26:27]
	v_add3_u32 v49, v49, v39, v0
	s_swappc_b64 s[30:31], s[54:55]
	s_getpc_b64 s[4:5]
	s_add_u32 s4, s4, .str.22@rel32@lo+4
	s_addc_u32 s5, s5, .str.22@rel32@hi+12
	s_mov_b64 s[8:9], s[26:27]
	v_mov_b32_e32 v2, s4
	v_mov_b32_e32 v3, s5
	;; [unrolled: 1-line block ×4, first 2 shown]
	s_swappc_b64 s[30:31], s[52:53]
	s_mov_b64 s[8:9], s[26:27]
	v_mov_b32_e32 v2, 0x7fff
	v_mov_b32_e32 v3, v51
	v_mov_b32_e32 v4, v51
	s_swappc_b64 s[30:31], s[50:51]
	s_mov_b64 s[8:9], s[26:27]
	v_mov_b32_e32 v2, 0xffff8000
	v_mov_b32_e32 v3, v51
	v_mov_b32_e32 v4, v51
	;; [unrolled: 5-line block ×8, first 2 shown]
	s_swappc_b64 s[30:31], s[50:51]
	s_mov_b64 s[8:9], s[26:27]
	v_bfrev_b32_e32 v2, -2
	v_mov_b32_e32 v3, v51
	v_mov_b32_e32 v4, v51
	s_swappc_b64 s[30:31], s[50:51]
	s_mov_b64 s[8:9], s[26:27]
	v_bfrev_b32_e32 v2, 1
	v_mov_b32_e32 v3, v51
	v_mov_b32_e32 v4, v51
	s_swappc_b64 s[30:31], s[50:51]
	s_mov_b64 s[8:9], s[26:27]
	v_mov_b32_e32 v2, -1
	v_mov_b32_e32 v3, v51
	v_mov_b32_e32 v4, v51
	s_swappc_b64 s[30:31], s[50:51]
	s_mov_b64 s[8:9], s[26:27]
	v_mov_b32_e32 v2, v51
	v_mov_b32_e32 v3, v51
	v_mov_b32_e32 v4, 1
	s_swappc_b64 s[30:31], s[50:51]
	s_mov_b64 s[8:9], s[26:27]
	v_mov_b32_e32 v39, v0
	s_swappc_b64 s[30:31], s[54:55]
	s_getpc_b64 s[4:5]
	s_add_u32 s4, s4, .str.23@rel32@lo+4
	s_addc_u32 s5, s5, .str.23@rel32@hi+12
	s_mov_b64 s[8:9], s[26:27]
	v_mov_b32_e32 v2, s4
	v_mov_b32_e32 v3, s5
	;; [unrolled: 1-line block ×4, first 2 shown]
	s_swappc_b64 s[30:31], s[52:53]
	s_mov_b64 s[8:9], s[26:27]
	v_mov_b32_e32 v2, 0x7fff
	v_mov_b32_e32 v3, v51
	v_mov_b32_e32 v4, v51
	s_swappc_b64 s[30:31], s[50:51]
	s_mov_b64 s[8:9], s[26:27]
	v_mov_b32_e32 v2, 0xffff8000
	v_mov_b32_e32 v3, v51
	v_mov_b32_e32 v4, v51
	;; [unrolled: 5-line block ×8, first 2 shown]
	s_swappc_b64 s[30:31], s[50:51]
	s_mov_b64 s[8:9], s[26:27]
	v_bfrev_b32_e32 v2, -2
	v_mov_b32_e32 v3, v51
	v_mov_b32_e32 v4, v51
	s_swappc_b64 s[30:31], s[50:51]
	s_mov_b64 s[8:9], s[26:27]
	v_bfrev_b32_e32 v2, 1
	v_mov_b32_e32 v3, v51
	v_mov_b32_e32 v4, v51
	s_swappc_b64 s[30:31], s[50:51]
	s_mov_b64 s[8:9], s[26:27]
	v_mov_b32_e32 v2, -1
	v_mov_b32_e32 v3, v51
	v_mov_b32_e32 v4, v51
	s_swappc_b64 s[30:31], s[50:51]
	s_mov_b64 s[8:9], s[26:27]
	v_mov_b32_e32 v2, v51
	v_mov_b32_e32 v3, v51
	;; [unrolled: 1-line block ×3, first 2 shown]
	s_swappc_b64 s[30:31], s[50:51]
	s_mov_b64 s[8:9], s[26:27]
	v_add3_u32 v49, v49, v39, v0
	s_swappc_b64 s[30:31], s[54:55]
	s_getpc_b64 s[4:5]
	s_add_u32 s4, s4, .str.24@rel32@lo+4
	s_addc_u32 s5, s5, .str.24@rel32@hi+12
	s_mov_b64 s[8:9], s[26:27]
	v_mov_b32_e32 v2, s4
	v_mov_b32_e32 v3, s5
	v_mov_b32_e32 v4, s70
	v_mov_b32_e32 v5, v51
	s_swappc_b64 s[30:31], s[52:53]
	s_mov_b64 s[8:9], s[26:27]
	v_mov_b32_e32 v2, 0x7fff
	v_mov_b32_e32 v3, v51
	v_mov_b32_e32 v4, v51
	s_swappc_b64 s[30:31], s[50:51]
	s_mov_b64 s[8:9], s[26:27]
	v_mov_b32_e32 v2, 0xffff8000
	v_mov_b32_e32 v3, v51
	v_mov_b32_e32 v4, v51
	;; [unrolled: 5-line block ×8, first 2 shown]
	s_swappc_b64 s[30:31], s[50:51]
	s_mov_b64 s[8:9], s[26:27]
	v_bfrev_b32_e32 v2, -2
	v_mov_b32_e32 v3, v51
	v_mov_b32_e32 v4, v51
	s_swappc_b64 s[30:31], s[50:51]
	s_mov_b64 s[8:9], s[26:27]
	v_bfrev_b32_e32 v2, 1
	v_mov_b32_e32 v3, v51
	v_mov_b32_e32 v4, v51
	s_swappc_b64 s[30:31], s[50:51]
	s_mov_b64 s[8:9], s[26:27]
	v_mov_b32_e32 v2, -1
	v_mov_b32_e32 v3, v51
	v_mov_b32_e32 v4, v51
	s_swappc_b64 s[30:31], s[50:51]
	s_mov_b64 s[8:9], s[26:27]
	v_mov_b32_e32 v2, v51
	v_mov_b32_e32 v3, v51
	;; [unrolled: 1-line block ×3, first 2 shown]
	s_swappc_b64 s[30:31], s[50:51]
	s_mov_b64 s[8:9], s[26:27]
	v_mov_b32_e32 v39, v0
	s_swappc_b64 s[30:31], s[54:55]
	s_getpc_b64 s[4:5]
	s_add_u32 s4, s4, .str.25@rel32@lo+4
	s_addc_u32 s5, s5, .str.25@rel32@hi+12
	s_mov_b64 s[8:9], s[26:27]
	v_mov_b32_e32 v2, s4
	v_mov_b32_e32 v3, s5
	v_mov_b32_e32 v4, v38
	v_mov_b32_e32 v5, v51
	s_swappc_b64 s[30:31], s[52:53]
	s_mov_b64 s[8:9], s[26:27]
	v_mov_b32_e32 v2, 0x7f
	v_mov_b32_e32 v3, v51
	v_mov_b32_e32 v4, v51
	s_swappc_b64 s[30:31], s[50:51]
	s_mov_b64 s[8:9], s[26:27]
	v_mov_b32_e32 v2, 0xffffff80
	v_mov_b32_e32 v3, v51
	v_mov_b32_e32 v4, v51
	;; [unrolled: 5-line block ×4, first 2 shown]
	s_swappc_b64 s[30:31], s[50:51]
	s_add_i32 s73, s73, 1
	v_cmp_eq_u32_e32 vcc, s73, v33
	s_or_b64 s[36:37], vcc, s[36:37]
	v_add3_u32 v23, v49, v39, v0
	s_andn2_b64 exec, exec, s[36:37]
	s_cbranch_execz .LBB3_1576
.LBB3_3:                                ; =>This Loop Header: Depth=1
                                        ;     Child Loop BB3_9 Depth 2
                                        ;     Child Loop BB3_17 Depth 2
	;; [unrolled: 1-line block ×9, first 2 shown]
                                        ;       Child Loop BB3_38 Depth 3
                                        ;       Child Loop BB3_45 Depth 3
	;; [unrolled: 1-line block ×11, first 2 shown]
                                        ;     Child Loop BB3_148 Depth 2
                                        ;     Child Loop BB3_156 Depth 2
                                        ;     Child Loop BB3_165 Depth 2
                                        ;     Child Loop BB3_170 Depth 2
                                        ;     Child Loop BB3_176 Depth 2
                                        ;     Child Loop BB3_184 Depth 2
                                        ;     Child Loop BB3_193 Depth 2
                                        ;     Child Loop BB3_311 Depth 2
                                        ;     Child Loop BB3_649 Depth 2
                                        ;     Child Loop BB3_657 Depth 2
                                        ;     Child Loop BB3_666 Depth 2
                                        ;     Child Loop BB3_671 Depth 2
                                        ;     Child Loop BB3_315 Depth 2
                                        ;       Child Loop BB3_318 Depth 3
                                        ;       Child Loop BB3_325 Depth 3
                                        ;       Child Loop BB3_333 Depth 3
                                        ;       Child Loop BB3_341 Depth 3
                                        ;       Child Loop BB3_349 Depth 3
                                        ;       Child Loop BB3_357 Depth 3
                                        ;       Child Loop BB3_365 Depth 3
                                        ;       Child Loop BB3_373 Depth 3
                                        ;       Child Loop BB3_381 Depth 3
                                        ;       Child Loop BB3_390 Depth 3
                                        ;       Child Loop BB3_395 Depth 3
                                        ;     Child Loop BB3_676 Depth 2
                                        ;     Child Loop BB3_684 Depth 2
                                        ;     Child Loop BB3_693 Depth 2
                                        ;     Child Loop BB3_698 Depth 2
                                        ;     Child Loop BB3_702 Depth 2
                                        ;     Child Loop BB3_710 Depth 2
                                        ;     Child Loop BB3_719 Depth 2
                                        ;     Child Loop BB3_724 Depth 2
                                        ;     Child Loop BB3_728 Depth 2
                                        ;     Child Loop BB3_736 Depth 2
                                        ;     Child Loop BB3_745 Depth 2
                                        ;     Child Loop BB3_750 Depth 2
                                        ;     Child Loop BB3_754 Depth 2
                                        ;     Child Loop BB3_762 Depth 2
                                        ;     Child Loop BB3_771 Depth 2
                                        ;     Child Loop BB3_776 Depth 2
                                        ;     Child Loop BB3_200 Depth 2
                                        ;     Child Loop BB3_208 Depth 2
                                        ;     Child Loop BB3_217 Depth 2
                                        ;     Child Loop BB3_222 Depth 2
                                        ;     Child Loop BB3_400 Depth 2
                                        ;     Child Loop BB3_408 Depth 2
                                        ;     Child Loop BB3_417 Depth 2
                                        ;     Child Loop BB3_422 Depth 2
                                        ;     Child Loop BB3_226 Depth 2
                                        ;       Child Loop BB3_229 Depth 3
                                        ;       Child Loop BB3_236 Depth 3
                                        ;       Child Loop BB3_244 Depth 3
                                        ;       Child Loop BB3_252 Depth 3
                                        ;       Child Loop BB3_260 Depth 3
                                        ;       Child Loop BB3_268 Depth 3
                                        ;       Child Loop BB3_276 Depth 3
                                        ;       Child Loop BB3_284 Depth 3
                                        ;       Child Loop BB3_292 Depth 3
                                        ;       Child Loop BB3_301 Depth 3
                                        ;       Child Loop BB3_306 Depth 3
                                        ;     Child Loop BB3_427 Depth 2
                                        ;     Child Loop BB3_435 Depth 2
                                        ;     Child Loop BB3_444 Depth 2
                                        ;     Child Loop BB3_449 Depth 2
                                        ;     Child Loop BB3_453 Depth 2
                                        ;     Child Loop BB3_461 Depth 2
                                        ;     Child Loop BB3_470 Depth 2
                                        ;     Child Loop BB3_475 Depth 2
                                        ;     Child Loop BB3_479 Depth 2
                                        ;     Child Loop BB3_487 Depth 2
                                        ;     Child Loop BB3_496 Depth 2
                                        ;     Child Loop BB3_501 Depth 2
	;; [unrolled: 36-line block ×3, first 2 shown]
                                        ;     Child Loop BB3_889 Depth 2
                                        ;     Child Loop BB3_897 Depth 2
                                        ;     Child Loop BB3_906 Depth 2
                                        ;     Child Loop BB3_936 Depth 2
                                        ;     Child Loop BB3_1115 Depth 2
                                        ;     Child Loop BB3_1123 Depth 2
                                        ;     Child Loop BB3_1132 Depth 2
                                        ;     Child Loop BB3_1137 Depth 2
                                        ;     Child Loop BB3_940 Depth 2
                                        ;       Child Loop BB3_943 Depth 3
                                        ;       Child Loop BB3_950 Depth 3
                                        ;       Child Loop BB3_958 Depth 3
                                        ;       Child Loop BB3_966 Depth 3
                                        ;       Child Loop BB3_974 Depth 3
                                        ;       Child Loop BB3_982 Depth 3
                                        ;       Child Loop BB3_990 Depth 3
                                        ;       Child Loop BB3_998 Depth 3
                                        ;       Child Loop BB3_1006 Depth 3
                                        ;       Child Loop BB3_1015 Depth 3
                                        ;       Child Loop BB3_1020 Depth 3
                                        ;     Child Loop BB3_1142 Depth 2
                                        ;     Child Loop BB3_1150 Depth 2
                                        ;     Child Loop BB3_1159 Depth 2
                                        ;     Child Loop BB3_1164 Depth 2
                                        ;     Child Loop BB3_1168 Depth 2
                                        ;     Child Loop BB3_1176 Depth 2
                                        ;     Child Loop BB3_1185 Depth 2
                                        ;     Child Loop BB3_1190 Depth 2
                                        ;     Child Loop BB3_1194 Depth 2
                                        ;     Child Loop BB3_1202 Depth 2
                                        ;     Child Loop BB3_1211 Depth 2
                                        ;     Child Loop BB3_1216 Depth 2
                                        ;     Child Loop BB3_914 Depth 2
                                        ;     Child Loop BB3_922 Depth 2
                                        ;     Child Loop BB3_931 Depth 2
                                        ;     Child Loop BB3_1024 Depth 2
                                        ;     Child Loop BB3_1222 Depth 2
                                        ;     Child Loop BB3_1230 Depth 2
                                        ;     Child Loop BB3_1239 Depth 2
                                        ;     Child Loop BB3_1244 Depth 2
                                        ;     Child Loop BB3_1028 Depth 2
                                        ;       Child Loop BB3_1031 Depth 3
                                        ;       Child Loop BB3_1038 Depth 3
                                        ;       Child Loop BB3_1046 Depth 3
                                        ;       Child Loop BB3_1054 Depth 3
                                        ;       Child Loop BB3_1062 Depth 3
                                        ;       Child Loop BB3_1070 Depth 3
                                        ;       Child Loop BB3_1078 Depth 3
                                        ;       Child Loop BB3_1086 Depth 3
                                        ;       Child Loop BB3_1094 Depth 3
                                        ;       Child Loop BB3_1103 Depth 3
                                        ;       Child Loop BB3_1108 Depth 3
                                        ;     Child Loop BB3_1249 Depth 2
                                        ;     Child Loop BB3_1257 Depth 2
                                        ;     Child Loop BB3_1266 Depth 2
                                        ;     Child Loop BB3_1271 Depth 2
                                        ;     Child Loop BB3_1275 Depth 2
                                        ;     Child Loop BB3_1283 Depth 2
                                        ;     Child Loop BB3_1292 Depth 2
                                        ;     Child Loop BB3_1297 Depth 2
                                        ;     Child Loop BB3_1301 Depth 2
                                        ;     Child Loop BB3_1309 Depth 2
                                        ;     Child Loop BB3_1318 Depth 2
                                        ;     Child Loop BB3_1323 Depth 2
	;; [unrolled: 32-line block ×3, first 2 shown]
                                        ;     Child Loop BB3_1547 Depth 2
                                        ;       Child Loop BB3_1572 Depth 3
	flat_load_dword v26, v[44:45]
	v_cmp_lt_i32_e32 vcc, 3, v56
                                        ; implicit-def: $vgpr0_vgpr1
	s_and_saveexec_b64 s[4:5], vcc
	s_xor_b64 s[18:19], exec, s[4:5]
	s_cbranch_execz .LBB3_530
; %bb.4:                                ;   in Loop: Header=BB3_3 Depth=1
	v_cmp_lt_i32_e32 vcc, 4, v56
                                        ; implicit-def: $vgpr0_vgpr1
	s_and_saveexec_b64 s[4:5], vcc
	s_xor_b64 s[20:21], exec, s[4:5]
	s_cbranch_execz .LBB3_196
; %bb.5:                                ;   in Loop: Header=BB3_3 Depth=1
	;; [unrolled: 6-line block ×3, first 2 shown]
	flat_load_dword v27, v[46:47]
	s_load_dwordx2 s[6:7], s[26:27], 0x50
	v_readfirstlane_b32 s4, v57
	v_cmp_eq_u32_e64 s[4:5], s4, v57
	v_pk_mov_b32 v[4:5], 0, 0
	s_and_saveexec_b64 s[8:9], s[4:5]
	s_cbranch_execz .LBB3_12
; %bb.7:                                ;   in Loop: Header=BB3_3 Depth=1
	s_waitcnt lgkmcnt(0)
	global_load_dwordx2 v[2:3], v51, s[6:7] offset:24 glc
	s_waitcnt vmcnt(0)
	buffer_invl2
	buffer_wbinvl1_vol
	global_load_dwordx2 v[0:1], v51, s[6:7] offset:40
	global_load_dwordx2 v[4:5], v51, s[6:7]
	s_waitcnt vmcnt(1)
	v_and_b32_e32 v0, v0, v2
	v_and_b32_e32 v1, v1, v3
	v_mul_lo_u32 v1, v1, 24
	v_mul_hi_u32 v6, v0, 24
	v_mul_lo_u32 v0, v0, 24
	v_add_u32_e32 v1, v6, v1
	s_waitcnt vmcnt(0)
	v_add_co_u32_e32 v0, vcc, v4, v0
	v_addc_co_u32_e32 v1, vcc, v5, v1, vcc
	global_load_dwordx2 v[0:1], v[0:1], off glc
	s_waitcnt vmcnt(0)
	global_atomic_cmpswap_x2 v[4:5], v51, v[0:3], s[6:7] offset:24 glc
	s_waitcnt vmcnt(0)
	buffer_invl2
	buffer_wbinvl1_vol
	v_cmp_ne_u64_e32 vcc, v[4:5], v[2:3]
	s_and_saveexec_b64 s[10:11], vcc
	s_cbranch_execz .LBB3_11
; %bb.8:                                ;   in Loop: Header=BB3_3 Depth=1
	s_mov_b64 s[12:13], 0
.LBB3_9:                                ;   Parent Loop BB3_3 Depth=1
                                        ; =>  This Inner Loop Header: Depth=2
	s_sleep 1
	global_load_dwordx2 v[0:1], v51, s[6:7] offset:40
	global_load_dwordx2 v[6:7], v51, s[6:7]
	v_pk_mov_b32 v[2:3], v[4:5], v[4:5] op_sel:[0,1]
	s_waitcnt vmcnt(1)
	v_and_b32_e32 v0, v0, v2
	v_and_b32_e32 v5, v1, v3
	s_waitcnt vmcnt(0)
	v_mad_u64_u32 v[0:1], s[14:15], v0, 24, v[6:7]
	v_mov_b32_e32 v4, v1
	v_mad_u64_u32 v[4:5], s[14:15], v5, 24, v[4:5]
	v_mov_b32_e32 v1, v4
	global_load_dwordx2 v[0:1], v[0:1], off glc
	s_waitcnt vmcnt(0)
	global_atomic_cmpswap_x2 v[4:5], v51, v[0:3], s[6:7] offset:24 glc
	s_waitcnt vmcnt(0)
	buffer_invl2
	buffer_wbinvl1_vol
	v_cmp_eq_u64_e32 vcc, v[4:5], v[2:3]
	s_or_b64 s[12:13], vcc, s[12:13]
	s_andn2_b64 exec, exec, s[12:13]
	s_cbranch_execnz .LBB3_9
; %bb.10:                               ;   in Loop: Header=BB3_3 Depth=1
	s_or_b64 exec, exec, s[12:13]
.LBB3_11:                               ;   in Loop: Header=BB3_3 Depth=1
	s_or_b64 exec, exec, s[10:11]
.LBB3_12:                               ;   in Loop: Header=BB3_3 Depth=1
	s_or_b64 exec, exec, s[8:9]
	s_waitcnt lgkmcnt(0)
	global_load_dwordx2 v[6:7], v51, s[6:7] offset:40
	global_load_dwordx4 v[0:3], v51, s[6:7]
	v_readfirstlane_b32 s8, v4
	v_readfirstlane_b32 s9, v5
	s_mov_b64 s[10:11], exec
	s_waitcnt vmcnt(0)
	v_readfirstlane_b32 s12, v6
	v_readfirstlane_b32 s13, v7
	s_and_b64 s[12:13], s[8:9], s[12:13]
	s_mul_i32 s14, s13, 24
	s_mul_hi_u32 s15, s12, 24
	s_mul_i32 s16, s12, 24
	s_add_i32 s14, s15, s14
	v_mov_b32_e32 v5, s14
	v_add_co_u32_e32 v4, vcc, s16, v0
	v_addc_co_u32_e32 v5, vcc, v1, v5, vcc
	s_and_saveexec_b64 s[14:15], s[4:5]
	s_cbranch_execz .LBB3_14
; %bb.13:                               ;   in Loop: Header=BB3_3 Depth=1
	v_pk_mov_b32 v[40:41], s[10:11], s[10:11] op_sel:[0,1]
	global_store_dwordx4 v[4:5], v[40:43], off offset:8
.LBB3_14:                               ;   in Loop: Header=BB3_3 Depth=1
	s_or_b64 exec, exec, s[14:15]
	s_lshl_b64 s[10:11], s[12:13], 12
	v_mov_b32_e32 v7, s11
	v_add_co_u32_e32 v6, vcc, s10, v2
	s_mov_b32 s29, s28
	v_addc_co_u32_e32 v7, vcc, v3, v7, vcc
	s_mov_b32 s30, s28
	s_mov_b32 s31, s28
	v_pk_mov_b32 v[8:9], s[28:29], s[28:29] op_sel:[0,1]
	v_lshlrev_b32_e32 v28, 6, v57
	v_mov_b32_e32 v49, v51
	v_mov_b32_e32 v50, v51
	v_readfirstlane_b32 s10, v6
	v_readfirstlane_b32 s11, v7
	v_pk_mov_b32 v[10:11], s[30:31], s[30:31] op_sel:[0,1]
	s_nop 3
	global_store_dwordx4 v28, v[48:51], s[10:11]
	global_store_dwordx4 v28, v[8:11], s[10:11] offset:16
	global_store_dwordx4 v28, v[8:11], s[10:11] offset:32
	;; [unrolled: 1-line block ×3, first 2 shown]
	s_and_saveexec_b64 s[10:11], s[4:5]
	s_cbranch_execz .LBB3_22
; %bb.15:                               ;   in Loop: Header=BB3_3 Depth=1
	global_load_dwordx2 v[12:13], v51, s[6:7] offset:32 glc
	global_load_dwordx2 v[2:3], v51, s[6:7] offset:40
	v_mov_b32_e32 v10, s8
	v_mov_b32_e32 v11, s9
	s_waitcnt vmcnt(0)
	v_and_b32_e32 v2, s8, v2
	v_and_b32_e32 v3, s9, v3
	v_mul_lo_u32 v3, v3, 24
	v_mul_hi_u32 v8, v2, 24
	v_mul_lo_u32 v2, v2, 24
	v_add_u32_e32 v3, v8, v3
	v_add_co_u32_e32 v8, vcc, v0, v2
	v_addc_co_u32_e32 v9, vcc, v1, v3, vcc
	global_store_dwordx2 v[8:9], v[12:13], off
	buffer_wbl2
	s_waitcnt vmcnt(0)
	global_atomic_cmpswap_x2 v[2:3], v51, v[10:13], s[6:7] offset:32 glc
	s_waitcnt vmcnt(0)
	v_cmp_ne_u64_e32 vcc, v[2:3], v[12:13]
	s_and_saveexec_b64 s[12:13], vcc
	s_cbranch_execz .LBB3_18
; %bb.16:                               ;   in Loop: Header=BB3_3 Depth=1
	s_mov_b64 s[14:15], 0
.LBB3_17:                               ;   Parent Loop BB3_3 Depth=1
                                        ; =>  This Inner Loop Header: Depth=2
	s_sleep 1
	global_store_dwordx2 v[8:9], v[2:3], off
	v_mov_b32_e32 v0, s8
	v_mov_b32_e32 v1, s9
	buffer_wbl2
	s_waitcnt vmcnt(0)
	global_atomic_cmpswap_x2 v[0:1], v51, v[0:3], s[6:7] offset:32 glc
	s_waitcnt vmcnt(0)
	v_cmp_eq_u64_e32 vcc, v[0:1], v[2:3]
	s_or_b64 s[14:15], vcc, s[14:15]
	v_pk_mov_b32 v[2:3], v[0:1], v[0:1] op_sel:[0,1]
	s_andn2_b64 exec, exec, s[14:15]
	s_cbranch_execnz .LBB3_17
.LBB3_18:                               ;   in Loop: Header=BB3_3 Depth=1
	s_or_b64 exec, exec, s[12:13]
	global_load_dwordx2 v[0:1], v51, s[6:7] offset:16
	s_mov_b64 s[14:15], exec
	v_mbcnt_lo_u32_b32 v2, s14, 0
	v_mbcnt_hi_u32_b32 v2, s15, v2
	v_cmp_eq_u32_e32 vcc, 0, v2
	s_and_saveexec_b64 s[12:13], vcc
	s_cbranch_execz .LBB3_20
; %bb.19:                               ;   in Loop: Header=BB3_3 Depth=1
	s_bcnt1_i32_b64 s14, s[14:15]
	v_mov_b32_e32 v50, s14
	buffer_wbl2
	s_waitcnt vmcnt(0)
	global_atomic_add_x2 v[0:1], v[50:51], off offset:8
.LBB3_20:                               ;   in Loop: Header=BB3_3 Depth=1
	s_or_b64 exec, exec, s[12:13]
	s_waitcnt vmcnt(0)
	global_load_dwordx2 v[2:3], v[0:1], off offset:16
	s_waitcnt vmcnt(0)
	v_cmp_eq_u64_e32 vcc, 0, v[2:3]
	s_cbranch_vccnz .LBB3_22
; %bb.21:                               ;   in Loop: Header=BB3_3 Depth=1
	global_load_dword v50, v[0:1], off offset:24
	s_waitcnt vmcnt(0)
	v_and_b32_e32 v0, 0xffffff, v50
	v_readfirstlane_b32 m0, v0
	buffer_wbl2
	global_store_dwordx2 v[2:3], v[50:51], off
	s_sendmsg sendmsg(MSG_INTERRUPT)
.LBB3_22:                               ;   in Loop: Header=BB3_3 Depth=1
	s_or_b64 exec, exec, s[10:11]
	v_add_co_u32_e32 v0, vcc, v6, v28
	v_addc_co_u32_e32 v1, vcc, 0, v7, vcc
	s_branch .LBB3_26
.LBB3_23:                               ;   in Loop: Header=BB3_26 Depth=2
	s_or_b64 exec, exec, s[10:11]
	v_readfirstlane_b32 s10, v2
	s_cmp_eq_u32 s10, 0
	s_cbranch_scc1 .LBB3_25
; %bb.24:                               ;   in Loop: Header=BB3_26 Depth=2
	s_sleep 1
	s_cbranch_execnz .LBB3_26
	s_branch .LBB3_28
.LBB3_25:                               ;   in Loop: Header=BB3_3 Depth=1
	s_branch .LBB3_28
.LBB3_26:                               ;   Parent Loop BB3_3 Depth=1
                                        ; =>  This Inner Loop Header: Depth=2
	v_mov_b32_e32 v2, 1
	s_and_saveexec_b64 s[10:11], s[4:5]
	s_cbranch_execz .LBB3_23
; %bb.27:                               ;   in Loop: Header=BB3_26 Depth=2
	global_load_dword v2, v[4:5], off offset:20 glc
	s_waitcnt vmcnt(0)
	buffer_invl2
	buffer_wbinvl1_vol
	v_and_b32_e32 v2, 1, v2
	s_branch .LBB3_23
.LBB3_28:                               ;   in Loop: Header=BB3_3 Depth=1
	global_load_dwordx2 v[0:1], v[0:1], off
	s_and_saveexec_b64 s[10:11], s[4:5]
	s_cbranch_execz .LBB3_32
; %bb.29:                               ;   in Loop: Header=BB3_3 Depth=1
	global_load_dwordx2 v[6:7], v51, s[6:7] offset:40
	global_load_dwordx2 v[8:9], v51, s[6:7] offset:24 glc
	global_load_dwordx2 v[10:11], v51, s[6:7]
	v_mov_b32_e32 v3, s9
	s_waitcnt vmcnt(2)
	v_add_co_u32_e32 v5, vcc, 1, v6
	v_addc_co_u32_e32 v12, vcc, 0, v7, vcc
	v_add_co_u32_e32 v2, vcc, s8, v5
	v_addc_co_u32_e32 v3, vcc, v12, v3, vcc
	v_cmp_eq_u64_e32 vcc, 0, v[2:3]
	v_cndmask_b32_e32 v3, v3, v12, vcc
	v_cndmask_b32_e32 v2, v2, v5, vcc
	v_and_b32_e32 v5, v3, v7
	v_and_b32_e32 v6, v2, v6
	v_mul_lo_u32 v5, v5, 24
	v_mul_hi_u32 v7, v6, 24
	v_mul_lo_u32 v6, v6, 24
	v_add_u32_e32 v5, v7, v5
	s_waitcnt vmcnt(0)
	v_add_co_u32_e32 v6, vcc, v10, v6
	v_addc_co_u32_e32 v7, vcc, v11, v5, vcc
	v_mov_b32_e32 v4, v8
	global_store_dwordx2 v[6:7], v[8:9], off
	v_mov_b32_e32 v5, v9
	buffer_wbl2
	s_waitcnt vmcnt(0)
	global_atomic_cmpswap_x2 v[4:5], v51, v[2:5], s[6:7] offset:24 glc
	s_waitcnt vmcnt(0)
	v_cmp_ne_u64_e32 vcc, v[4:5], v[8:9]
	s_and_b64 exec, exec, vcc
	s_cbranch_execz .LBB3_32
; %bb.30:                               ;   in Loop: Header=BB3_3 Depth=1
	s_mov_b64 s[4:5], 0
.LBB3_31:                               ;   Parent Loop BB3_3 Depth=1
                                        ; =>  This Inner Loop Header: Depth=2
	s_sleep 1
	global_store_dwordx2 v[6:7], v[4:5], off
	buffer_wbl2
	s_waitcnt vmcnt(0)
	global_atomic_cmpswap_x2 v[8:9], v51, v[2:5], s[6:7] offset:24 glc
	s_waitcnt vmcnt(0)
	v_cmp_eq_u64_e32 vcc, v[8:9], v[4:5]
	s_or_b64 s[4:5], vcc, s[4:5]
	v_pk_mov_b32 v[4:5], v[8:9], v[8:9] op_sel:[0,1]
	s_andn2_b64 exec, exec, s[4:5]
	s_cbranch_execnz .LBB3_31
.LBB3_32:                               ;   in Loop: Header=BB3_3 Depth=1
	s_or_b64 exec, exec, s[10:11]
	s_and_b64 vcc, exec, s[38:39]
	s_cbranch_vccz .LBB3_117
; %bb.33:                               ;   in Loop: Header=BB3_3 Depth=1
	s_waitcnt vmcnt(0)
	v_and_b32_e32 v22, 2, v0
	v_and_b32_e32 v2, -3, v0
	v_mov_b32_e32 v3, v1
	s_mov_b64 s[10:11], 45
	s_getpc_b64 s[8:9]
	s_add_u32 s8, s8, .str.5@rel32@lo+4
	s_addc_u32 s9, s9, .str.5@rel32@hi+12
	s_branch .LBB3_35
.LBB3_34:                               ;   in Loop: Header=BB3_35 Depth=2
	s_or_b64 exec, exec, s[16:17]
	s_sub_u32 s10, s10, s12
	s_subb_u32 s11, s11, s13
	s_add_u32 s8, s8, s12
	s_addc_u32 s9, s9, s13
	s_cmp_lg_u64 s[10:11], 0
	s_cbranch_scc0 .LBB3_116
.LBB3_35:                               ;   Parent Loop BB3_3 Depth=1
                                        ; =>  This Loop Header: Depth=2
                                        ;       Child Loop BB3_38 Depth 3
                                        ;       Child Loop BB3_45 Depth 3
	;; [unrolled: 1-line block ×11, first 2 shown]
	v_cmp_lt_u64_e64 s[4:5], s[10:11], 56
	s_and_b64 s[4:5], s[4:5], exec
	v_cmp_gt_u64_e64 s[4:5], s[10:11], 7
	s_cselect_b32 s13, s11, 0
	s_cselect_b32 s12, s10, 56
	s_and_b64 vcc, exec, s[4:5]
	s_cbranch_vccnz .LBB3_40
; %bb.36:                               ;   in Loop: Header=BB3_35 Depth=2
	s_mov_b64 s[4:5], 0
	s_cmp_eq_u64 s[10:11], 0
	s_waitcnt vmcnt(0)
	v_pk_mov_b32 v[4:5], 0, 0
	s_cbranch_scc1 .LBB3_39
; %bb.37:                               ;   in Loop: Header=BB3_35 Depth=2
	s_lshl_b64 s[14:15], s[12:13], 3
	s_mov_b64 s[16:17], 0
	v_pk_mov_b32 v[4:5], 0, 0
	s_mov_b64 s[24:25], s[8:9]
.LBB3_38:                               ;   Parent Loop BB3_3 Depth=1
                                        ;     Parent Loop BB3_35 Depth=2
                                        ; =>    This Inner Loop Header: Depth=3
	global_load_ubyte v6, v51, s[24:25]
	s_waitcnt vmcnt(0)
	v_and_b32_e32 v50, 0xffff, v6
	v_lshlrev_b64 v[6:7], s16, v[50:51]
	s_add_u32 s16, s16, 8
	s_addc_u32 s17, s17, 0
	s_add_u32 s24, s24, 1
	s_addc_u32 s25, s25, 0
	v_or_b32_e32 v4, v6, v4
	s_cmp_lg_u32 s14, s16
	v_or_b32_e32 v5, v7, v5
	s_cbranch_scc1 .LBB3_38
.LBB3_39:                               ;   in Loop: Header=BB3_35 Depth=2
	s_mov_b32 s24, 0
	s_andn2_b64 vcc, exec, s[4:5]
	s_mov_b64 s[4:5], s[8:9]
	s_cbranch_vccz .LBB3_41
	s_branch .LBB3_42
.LBB3_40:                               ;   in Loop: Header=BB3_35 Depth=2
                                        ; implicit-def: $vgpr4_vgpr5
                                        ; implicit-def: $sgpr24
	s_mov_b64 s[4:5], s[8:9]
.LBB3_41:                               ;   in Loop: Header=BB3_35 Depth=2
	global_load_dwordx2 v[4:5], v51, s[8:9]
	s_add_i32 s24, s12, -8
	s_add_u32 s4, s8, 8
	s_addc_u32 s5, s9, 0
.LBB3_42:                               ;   in Loop: Header=BB3_35 Depth=2
	s_cmp_gt_u32 s24, 7
	s_cbranch_scc1 .LBB3_46
; %bb.43:                               ;   in Loop: Header=BB3_35 Depth=2
	s_cmp_eq_u32 s24, 0
	s_cbranch_scc1 .LBB3_47
; %bb.44:                               ;   in Loop: Header=BB3_35 Depth=2
	s_mov_b64 s[14:15], 0
	v_pk_mov_b32 v[6:7], 0, 0
	s_mov_b64 s[16:17], 0
.LBB3_45:                               ;   Parent Loop BB3_3 Depth=1
                                        ;     Parent Loop BB3_35 Depth=2
                                        ; =>    This Inner Loop Header: Depth=3
	s_add_u32 vcc_lo, s4, s16
	s_addc_u32 vcc_hi, s5, s17
	global_load_ubyte v8, v51, vcc
	s_add_u32 s16, s16, 1
	s_addc_u32 s17, s17, 0
	s_waitcnt vmcnt(0)
	v_and_b32_e32 v50, 0xffff, v8
	v_lshlrev_b64 v[8:9], s14, v[50:51]
	s_add_u32 s14, s14, 8
	s_addc_u32 s15, s15, 0
	v_or_b32_e32 v6, v8, v6
	s_cmp_lg_u32 s24, s16
	v_or_b32_e32 v7, v9, v7
	s_cbranch_scc1 .LBB3_45
	s_branch .LBB3_48
.LBB3_46:                               ;   in Loop: Header=BB3_35 Depth=2
                                        ; implicit-def: $vgpr6_vgpr7
                                        ; implicit-def: $sgpr25
	s_branch .LBB3_49
.LBB3_47:                               ;   in Loop: Header=BB3_35 Depth=2
	v_pk_mov_b32 v[6:7], 0, 0
.LBB3_48:                               ;   in Loop: Header=BB3_35 Depth=2
	s_mov_b32 s25, 0
	s_cbranch_execnz .LBB3_50
.LBB3_49:                               ;   in Loop: Header=BB3_35 Depth=2
	global_load_dwordx2 v[6:7], v51, s[4:5]
	s_add_i32 s25, s24, -8
	s_add_u32 s4, s4, 8
	s_addc_u32 s5, s5, 0
.LBB3_50:                               ;   in Loop: Header=BB3_35 Depth=2
	s_cmp_gt_u32 s25, 7
	s_cbranch_scc1 .LBB3_54
; %bb.51:                               ;   in Loop: Header=BB3_35 Depth=2
	s_cmp_eq_u32 s25, 0
	s_cbranch_scc1 .LBB3_55
; %bb.52:                               ;   in Loop: Header=BB3_35 Depth=2
	s_mov_b64 s[14:15], 0
	v_pk_mov_b32 v[8:9], 0, 0
	s_mov_b64 s[16:17], 0
.LBB3_53:                               ;   Parent Loop BB3_3 Depth=1
                                        ;     Parent Loop BB3_35 Depth=2
                                        ; =>    This Inner Loop Header: Depth=3
	s_add_u32 vcc_lo, s4, s16
	s_addc_u32 vcc_hi, s5, s17
	global_load_ubyte v10, v51, vcc
	s_add_u32 s16, s16, 1
	s_addc_u32 s17, s17, 0
	s_waitcnt vmcnt(0)
	v_and_b32_e32 v50, 0xffff, v10
	v_lshlrev_b64 v[10:11], s14, v[50:51]
	s_add_u32 s14, s14, 8
	s_addc_u32 s15, s15, 0
	v_or_b32_e32 v8, v10, v8
	s_cmp_lg_u32 s25, s16
	v_or_b32_e32 v9, v11, v9
	s_cbranch_scc1 .LBB3_53
	s_branch .LBB3_56
.LBB3_54:                               ;   in Loop: Header=BB3_35 Depth=2
                                        ; implicit-def: $sgpr24
	s_branch .LBB3_57
.LBB3_55:                               ;   in Loop: Header=BB3_35 Depth=2
	v_pk_mov_b32 v[8:9], 0, 0
.LBB3_56:                               ;   in Loop: Header=BB3_35 Depth=2
	s_mov_b32 s24, 0
	s_cbranch_execnz .LBB3_58
.LBB3_57:                               ;   in Loop: Header=BB3_35 Depth=2
	global_load_dwordx2 v[8:9], v51, s[4:5]
	s_add_i32 s24, s25, -8
	s_add_u32 s4, s4, 8
	s_addc_u32 s5, s5, 0
.LBB3_58:                               ;   in Loop: Header=BB3_35 Depth=2
	s_cmp_gt_u32 s24, 7
	s_cbranch_scc1 .LBB3_62
; %bb.59:                               ;   in Loop: Header=BB3_35 Depth=2
	s_cmp_eq_u32 s24, 0
	s_cbranch_scc1 .LBB3_63
; %bb.60:                               ;   in Loop: Header=BB3_35 Depth=2
	s_mov_b64 s[14:15], 0
	v_pk_mov_b32 v[10:11], 0, 0
	s_mov_b64 s[16:17], 0
.LBB3_61:                               ;   Parent Loop BB3_3 Depth=1
                                        ;     Parent Loop BB3_35 Depth=2
                                        ; =>    This Inner Loop Header: Depth=3
	s_add_u32 vcc_lo, s4, s16
	s_addc_u32 vcc_hi, s5, s17
	global_load_ubyte v12, v51, vcc
	s_add_u32 s16, s16, 1
	s_addc_u32 s17, s17, 0
	s_waitcnt vmcnt(0)
	v_and_b32_e32 v50, 0xffff, v12
	v_lshlrev_b64 v[12:13], s14, v[50:51]
	s_add_u32 s14, s14, 8
	s_addc_u32 s15, s15, 0
	v_or_b32_e32 v10, v12, v10
	s_cmp_lg_u32 s24, s16
	v_or_b32_e32 v11, v13, v11
	s_cbranch_scc1 .LBB3_61
	s_branch .LBB3_64
.LBB3_62:                               ;   in Loop: Header=BB3_35 Depth=2
                                        ; implicit-def: $vgpr10_vgpr11
                                        ; implicit-def: $sgpr25
	s_branch .LBB3_65
.LBB3_63:                               ;   in Loop: Header=BB3_35 Depth=2
	v_pk_mov_b32 v[10:11], 0, 0
.LBB3_64:                               ;   in Loop: Header=BB3_35 Depth=2
	s_mov_b32 s25, 0
	s_cbranch_execnz .LBB3_66
.LBB3_65:                               ;   in Loop: Header=BB3_35 Depth=2
	global_load_dwordx2 v[10:11], v51, s[4:5]
	s_add_i32 s25, s24, -8
	s_add_u32 s4, s4, 8
	s_addc_u32 s5, s5, 0
.LBB3_66:                               ;   in Loop: Header=BB3_35 Depth=2
	s_cmp_gt_u32 s25, 7
	s_cbranch_scc1 .LBB3_70
; %bb.67:                               ;   in Loop: Header=BB3_35 Depth=2
	s_cmp_eq_u32 s25, 0
	s_cbranch_scc1 .LBB3_71
; %bb.68:                               ;   in Loop: Header=BB3_35 Depth=2
	s_mov_b64 s[14:15], 0
	v_pk_mov_b32 v[12:13], 0, 0
	s_mov_b64 s[16:17], 0
.LBB3_69:                               ;   Parent Loop BB3_3 Depth=1
                                        ;     Parent Loop BB3_35 Depth=2
                                        ; =>    This Inner Loop Header: Depth=3
	s_add_u32 vcc_lo, s4, s16
	s_addc_u32 vcc_hi, s5, s17
	global_load_ubyte v14, v51, vcc
	s_add_u32 s16, s16, 1
	s_addc_u32 s17, s17, 0
	s_waitcnt vmcnt(0)
	v_and_b32_e32 v50, 0xffff, v14
	v_lshlrev_b64 v[14:15], s14, v[50:51]
	s_add_u32 s14, s14, 8
	s_addc_u32 s15, s15, 0
	v_or_b32_e32 v12, v14, v12
	s_cmp_lg_u32 s25, s16
	v_or_b32_e32 v13, v15, v13
	s_cbranch_scc1 .LBB3_69
	s_branch .LBB3_72
.LBB3_70:                               ;   in Loop: Header=BB3_35 Depth=2
                                        ; implicit-def: $sgpr24
	s_branch .LBB3_73
.LBB3_71:                               ;   in Loop: Header=BB3_35 Depth=2
	v_pk_mov_b32 v[12:13], 0, 0
.LBB3_72:                               ;   in Loop: Header=BB3_35 Depth=2
	s_mov_b32 s24, 0
	s_cbranch_execnz .LBB3_74
.LBB3_73:                               ;   in Loop: Header=BB3_35 Depth=2
	global_load_dwordx2 v[12:13], v51, s[4:5]
	s_add_i32 s24, s25, -8
	s_add_u32 s4, s4, 8
	s_addc_u32 s5, s5, 0
.LBB3_74:                               ;   in Loop: Header=BB3_35 Depth=2
	s_cmp_gt_u32 s24, 7
	s_cbranch_scc1 .LBB3_78
; %bb.75:                               ;   in Loop: Header=BB3_35 Depth=2
	s_cmp_eq_u32 s24, 0
	s_cbranch_scc1 .LBB3_79
; %bb.76:                               ;   in Loop: Header=BB3_35 Depth=2
	s_mov_b64 s[14:15], 0
	v_pk_mov_b32 v[14:15], 0, 0
	s_mov_b64 s[16:17], 0
.LBB3_77:                               ;   Parent Loop BB3_3 Depth=1
                                        ;     Parent Loop BB3_35 Depth=2
                                        ; =>    This Inner Loop Header: Depth=3
	s_add_u32 vcc_lo, s4, s16
	s_addc_u32 vcc_hi, s5, s17
	global_load_ubyte v16, v51, vcc
	s_add_u32 s16, s16, 1
	s_addc_u32 s17, s17, 0
	s_waitcnt vmcnt(0)
	v_and_b32_e32 v50, 0xffff, v16
	v_lshlrev_b64 v[16:17], s14, v[50:51]
	s_add_u32 s14, s14, 8
	s_addc_u32 s15, s15, 0
	v_or_b32_e32 v14, v16, v14
	s_cmp_lg_u32 s24, s16
	v_or_b32_e32 v15, v17, v15
	s_cbranch_scc1 .LBB3_77
	s_branch .LBB3_80
.LBB3_78:                               ;   in Loop: Header=BB3_35 Depth=2
                                        ; implicit-def: $vgpr14_vgpr15
                                        ; implicit-def: $sgpr25
	s_branch .LBB3_81
.LBB3_79:                               ;   in Loop: Header=BB3_35 Depth=2
	v_pk_mov_b32 v[14:15], 0, 0
.LBB3_80:                               ;   in Loop: Header=BB3_35 Depth=2
	s_mov_b32 s25, 0
	s_cbranch_execnz .LBB3_82
.LBB3_81:                               ;   in Loop: Header=BB3_35 Depth=2
	global_load_dwordx2 v[14:15], v51, s[4:5]
	s_add_i32 s25, s24, -8
	s_add_u32 s4, s4, 8
	s_addc_u32 s5, s5, 0
.LBB3_82:                               ;   in Loop: Header=BB3_35 Depth=2
	s_cmp_gt_u32 s25, 7
	s_cbranch_scc1 .LBB3_86
; %bb.83:                               ;   in Loop: Header=BB3_35 Depth=2
	s_cmp_eq_u32 s25, 0
	s_cbranch_scc1 .LBB3_87
; %bb.84:                               ;   in Loop: Header=BB3_35 Depth=2
	s_mov_b64 s[14:15], 0
	v_pk_mov_b32 v[16:17], 0, 0
	s_mov_b64 s[16:17], s[4:5]
.LBB3_85:                               ;   Parent Loop BB3_3 Depth=1
                                        ;     Parent Loop BB3_35 Depth=2
                                        ; =>    This Inner Loop Header: Depth=3
	global_load_ubyte v18, v51, s[16:17]
	s_add_i32 s25, s25, -1
	s_waitcnt vmcnt(0)
	v_and_b32_e32 v50, 0xffff, v18
	v_lshlrev_b64 v[18:19], s14, v[50:51]
	s_add_u32 s14, s14, 8
	s_addc_u32 s15, s15, 0
	s_add_u32 s16, s16, 1
	s_addc_u32 s17, s17, 0
	v_or_b32_e32 v16, v18, v16
	s_cmp_lg_u32 s25, 0
	v_or_b32_e32 v17, v19, v17
	s_cbranch_scc1 .LBB3_85
	s_branch .LBB3_88
.LBB3_86:                               ;   in Loop: Header=BB3_35 Depth=2
	s_branch .LBB3_89
.LBB3_87:                               ;   in Loop: Header=BB3_35 Depth=2
	v_pk_mov_b32 v[16:17], 0, 0
.LBB3_88:                               ;   in Loop: Header=BB3_35 Depth=2
	s_cbranch_execnz .LBB3_90
.LBB3_89:                               ;   in Loop: Header=BB3_35 Depth=2
	global_load_dwordx2 v[16:17], v51, s[4:5]
.LBB3_90:                               ;   in Loop: Header=BB3_35 Depth=2
	v_readfirstlane_b32 s4, v57
	v_cmp_eq_u32_e64 s[4:5], s4, v57
	v_pk_mov_b32 v[24:25], 0, 0
	s_and_saveexec_b64 s[14:15], s[4:5]
	s_cbranch_execz .LBB3_96
; %bb.91:                               ;   in Loop: Header=BB3_35 Depth=2
	global_load_dwordx2 v[20:21], v51, s[6:7] offset:24 glc
	s_waitcnt vmcnt(0)
	buffer_invl2
	buffer_wbinvl1_vol
	global_load_dwordx2 v[18:19], v51, s[6:7] offset:40
	global_load_dwordx2 v[24:25], v51, s[6:7]
	s_waitcnt vmcnt(1)
	v_and_b32_e32 v18, v18, v20
	v_and_b32_e32 v19, v19, v21
	v_mul_lo_u32 v19, v19, 24
	v_mul_hi_u32 v29, v18, 24
	v_mul_lo_u32 v18, v18, 24
	v_add_u32_e32 v19, v29, v19
	s_waitcnt vmcnt(0)
	v_add_co_u32_e32 v18, vcc, v24, v18
	v_addc_co_u32_e32 v19, vcc, v25, v19, vcc
	global_load_dwordx2 v[18:19], v[18:19], off glc
	s_waitcnt vmcnt(0)
	global_atomic_cmpswap_x2 v[24:25], v51, v[18:21], s[6:7] offset:24 glc
	s_waitcnt vmcnt(0)
	buffer_invl2
	buffer_wbinvl1_vol
	v_cmp_ne_u64_e32 vcc, v[24:25], v[20:21]
	s_and_saveexec_b64 s[16:17], vcc
	s_cbranch_execz .LBB3_95
; %bb.92:                               ;   in Loop: Header=BB3_35 Depth=2
	s_mov_b64 s[24:25], 0
.LBB3_93:                               ;   Parent Loop BB3_3 Depth=1
                                        ;     Parent Loop BB3_35 Depth=2
                                        ; =>    This Inner Loop Header: Depth=3
	s_sleep 1
	global_load_dwordx2 v[18:19], v51, s[6:7] offset:40
	global_load_dwordx2 v[30:31], v51, s[6:7]
	v_pk_mov_b32 v[20:21], v[24:25], v[24:25] op_sel:[0,1]
	s_waitcnt vmcnt(1)
	v_and_b32_e32 v18, v18, v20
	v_and_b32_e32 v25, v19, v21
	s_waitcnt vmcnt(0)
	v_mad_u64_u32 v[18:19], vcc, v18, 24, v[30:31]
	v_mov_b32_e32 v24, v19
	v_mad_u64_u32 v[24:25], vcc, v25, 24, v[24:25]
	v_mov_b32_e32 v19, v24
	global_load_dwordx2 v[18:19], v[18:19], off glc
	s_waitcnt vmcnt(0)
	global_atomic_cmpswap_x2 v[24:25], v51, v[18:21], s[6:7] offset:24 glc
	s_waitcnt vmcnt(0)
	buffer_invl2
	buffer_wbinvl1_vol
	v_cmp_eq_u64_e32 vcc, v[24:25], v[20:21]
	s_or_b64 s[24:25], vcc, s[24:25]
	s_andn2_b64 exec, exec, s[24:25]
	s_cbranch_execnz .LBB3_93
; %bb.94:                               ;   in Loop: Header=BB3_35 Depth=2
	s_or_b64 exec, exec, s[24:25]
.LBB3_95:                               ;   in Loop: Header=BB3_35 Depth=2
	s_or_b64 exec, exec, s[16:17]
.LBB3_96:                               ;   in Loop: Header=BB3_35 Depth=2
	s_or_b64 exec, exec, s[14:15]
	global_load_dwordx2 v[30:31], v51, s[6:7] offset:40
	global_load_dwordx4 v[18:21], v51, s[6:7]
	v_readfirstlane_b32 s14, v24
	v_readfirstlane_b32 s15, v25
	s_mov_b64 s[16:17], exec
	s_waitcnt vmcnt(1)
	v_readfirstlane_b32 s24, v30
	v_readfirstlane_b32 s25, v31
	s_and_b64 s[24:25], s[14:15], s[24:25]
	s_mul_i32 s29, s25, 24
	s_mul_hi_u32 vcc_lo, s24, 24
	s_mul_i32 vcc_hi, s24, 24
	s_add_i32 s29, vcc_lo, s29
	v_mov_b32_e32 v25, s29
	s_waitcnt vmcnt(0)
	v_add_co_u32_e32 v24, vcc, vcc_hi, v18
	v_addc_co_u32_e32 v25, vcc, v19, v25, vcc
	s_and_saveexec_b64 vcc, s[4:5]
	s_cbranch_execz .LBB3_98
; %bb.97:                               ;   in Loop: Header=BB3_35 Depth=2
	v_pk_mov_b32 v[40:41], s[16:17], s[16:17] op_sel:[0,1]
	global_store_dwordx4 v[24:25], v[40:43], off offset:8
.LBB3_98:                               ;   in Loop: Header=BB3_35 Depth=2
	s_or_b64 exec, exec, vcc
	s_lshl_b64 s[16:17], s[24:25], 12
	v_mov_b32_e32 v29, s17
	v_add_co_u32_e32 v20, vcc, s16, v20
	v_addc_co_u32_e32 v21, vcc, v21, v29, vcc
	v_or_b32_e32 v30, v2, v22
	v_cmp_gt_u64_e64 vcc, s[10:11], 56
	s_lshl_b32 s16, s12, 2
	v_cndmask_b32_e32 v2, v30, v2, vcc
	s_add_i32 s16, s16, 28
	v_or_b32_e32 v29, 0, v3
	s_and_b32 s16, s16, 0x1e0
	v_and_b32_e32 v2, 0xffffff1f, v2
	v_cndmask_b32_e32 v3, v29, v3, vcc
	v_or_b32_e32 v2, s16, v2
	v_readfirstlane_b32 s16, v20
	v_readfirstlane_b32 s17, v21
	s_nop 4
	global_store_dwordx4 v28, v[2:5], s[16:17]
	global_store_dwordx4 v28, v[6:9], s[16:17] offset:16
	global_store_dwordx4 v28, v[10:13], s[16:17] offset:32
	;; [unrolled: 1-line block ×3, first 2 shown]
	s_and_saveexec_b64 s[16:17], s[4:5]
	s_cbranch_execz .LBB3_106
; %bb.99:                               ;   in Loop: Header=BB3_35 Depth=2
	global_load_dwordx2 v[10:11], v51, s[6:7] offset:32 glc
	global_load_dwordx2 v[2:3], v51, s[6:7] offset:40
	v_mov_b32_e32 v8, s14
	v_mov_b32_e32 v9, s15
	s_waitcnt vmcnt(0)
	v_readfirstlane_b32 s24, v2
	v_readfirstlane_b32 s25, v3
	s_and_b64 s[24:25], s[24:25], s[14:15]
	s_mul_i32 s25, s25, 24
	s_mul_hi_u32 s29, s24, 24
	s_mul_i32 s24, s24, 24
	s_add_i32 s25, s29, s25
	v_mov_b32_e32 v2, s25
	v_add_co_u32_e32 v6, vcc, s24, v18
	v_addc_co_u32_e32 v7, vcc, v19, v2, vcc
	global_store_dwordx2 v[6:7], v[10:11], off
	buffer_wbl2
	s_waitcnt vmcnt(0)
	global_atomic_cmpswap_x2 v[4:5], v51, v[8:11], s[6:7] offset:32 glc
	s_waitcnt vmcnt(0)
	v_cmp_ne_u64_e32 vcc, v[4:5], v[10:11]
	s_and_saveexec_b64 s[24:25], vcc
	s_cbranch_execz .LBB3_102
; %bb.100:                              ;   in Loop: Header=BB3_35 Depth=2
	s_mov_b64 s[30:31], 0
.LBB3_101:                              ;   Parent Loop BB3_3 Depth=1
                                        ;     Parent Loop BB3_35 Depth=2
                                        ; =>    This Inner Loop Header: Depth=3
	s_sleep 1
	global_store_dwordx2 v[6:7], v[4:5], off
	v_mov_b32_e32 v2, s14
	v_mov_b32_e32 v3, s15
	buffer_wbl2
	s_waitcnt vmcnt(0)
	global_atomic_cmpswap_x2 v[2:3], v51, v[2:5], s[6:7] offset:32 glc
	s_waitcnt vmcnt(0)
	v_cmp_eq_u64_e32 vcc, v[2:3], v[4:5]
	s_or_b64 s[30:31], vcc, s[30:31]
	v_pk_mov_b32 v[4:5], v[2:3], v[2:3] op_sel:[0,1]
	s_andn2_b64 exec, exec, s[30:31]
	s_cbranch_execnz .LBB3_101
.LBB3_102:                              ;   in Loop: Header=BB3_35 Depth=2
	s_or_b64 exec, exec, s[24:25]
	global_load_dwordx2 v[2:3], v51, s[6:7] offset:16
	s_mov_b64 s[30:31], exec
	v_mbcnt_lo_u32_b32 v4, s30, 0
	v_mbcnt_hi_u32_b32 v4, s31, v4
	v_cmp_eq_u32_e32 vcc, 0, v4
	s_and_saveexec_b64 s[24:25], vcc
	s_cbranch_execz .LBB3_104
; %bb.103:                              ;   in Loop: Header=BB3_35 Depth=2
	s_bcnt1_i32_b64 s29, s[30:31]
	v_mov_b32_e32 v50, s29
	buffer_wbl2
	s_waitcnt vmcnt(0)
	global_atomic_add_x2 v[2:3], v[50:51], off offset:8
.LBB3_104:                              ;   in Loop: Header=BB3_35 Depth=2
	s_or_b64 exec, exec, s[24:25]
	s_waitcnt vmcnt(0)
	global_load_dwordx2 v[4:5], v[2:3], off offset:16
	s_waitcnt vmcnt(0)
	v_cmp_eq_u64_e32 vcc, 0, v[4:5]
	s_cbranch_vccnz .LBB3_106
; %bb.105:                              ;   in Loop: Header=BB3_35 Depth=2
	global_load_dword v50, v[2:3], off offset:24
	s_waitcnt vmcnt(0)
	v_and_b32_e32 v2, 0xffffff, v50
	v_readfirstlane_b32 m0, v2
	buffer_wbl2
	global_store_dwordx2 v[4:5], v[50:51], off
	s_sendmsg sendmsg(MSG_INTERRUPT)
.LBB3_106:                              ;   in Loop: Header=BB3_35 Depth=2
	s_or_b64 exec, exec, s[16:17]
	v_add_co_u32_e32 v2, vcc, v20, v28
	v_addc_co_u32_e32 v3, vcc, 0, v21, vcc
	s_branch .LBB3_110
.LBB3_107:                              ;   in Loop: Header=BB3_110 Depth=3
	s_or_b64 exec, exec, s[16:17]
	v_readfirstlane_b32 s16, v4
	s_cmp_eq_u32 s16, 0
	s_cbranch_scc1 .LBB3_109
; %bb.108:                              ;   in Loop: Header=BB3_110 Depth=3
	s_sleep 1
	s_cbranch_execnz .LBB3_110
	s_branch .LBB3_112
.LBB3_109:                              ;   in Loop: Header=BB3_35 Depth=2
	s_branch .LBB3_112
.LBB3_110:                              ;   Parent Loop BB3_3 Depth=1
                                        ;     Parent Loop BB3_35 Depth=2
                                        ; =>    This Inner Loop Header: Depth=3
	v_mov_b32_e32 v4, 1
	s_and_saveexec_b64 s[16:17], s[4:5]
	s_cbranch_execz .LBB3_107
; %bb.111:                              ;   in Loop: Header=BB3_110 Depth=3
	global_load_dword v4, v[24:25], off offset:20 glc
	s_waitcnt vmcnt(0)
	buffer_invl2
	buffer_wbinvl1_vol
	v_and_b32_e32 v4, 1, v4
	s_branch .LBB3_107
.LBB3_112:                              ;   in Loop: Header=BB3_35 Depth=2
	global_load_dwordx4 v[2:5], v[2:3], off
	s_and_saveexec_b64 s[16:17], s[4:5]
	s_cbranch_execz .LBB3_34
; %bb.113:                              ;   in Loop: Header=BB3_35 Depth=2
	global_load_dwordx2 v[8:9], v51, s[6:7] offset:40
	global_load_dwordx2 v[10:11], v51, s[6:7] offset:24 glc
	global_load_dwordx2 v[12:13], v51, s[6:7]
	s_waitcnt vmcnt(3)
	v_mov_b32_e32 v5, s15
	s_waitcnt vmcnt(2)
	v_add_co_u32_e32 v7, vcc, 1, v8
	v_addc_co_u32_e32 v14, vcc, 0, v9, vcc
	v_add_co_u32_e32 v4, vcc, s14, v7
	v_addc_co_u32_e32 v5, vcc, v14, v5, vcc
	v_cmp_eq_u64_e32 vcc, 0, v[4:5]
	v_cndmask_b32_e32 v5, v5, v14, vcc
	v_cndmask_b32_e32 v4, v4, v7, vcc
	v_and_b32_e32 v7, v5, v9
	v_and_b32_e32 v8, v4, v8
	v_mul_lo_u32 v7, v7, 24
	v_mul_hi_u32 v9, v8, 24
	v_mul_lo_u32 v8, v8, 24
	v_add_u32_e32 v7, v9, v7
	s_waitcnt vmcnt(0)
	v_add_co_u32_e32 v8, vcc, v12, v8
	v_addc_co_u32_e32 v9, vcc, v13, v7, vcc
	v_mov_b32_e32 v6, v10
	global_store_dwordx2 v[8:9], v[10:11], off
	v_mov_b32_e32 v7, v11
	buffer_wbl2
	s_waitcnt vmcnt(0)
	global_atomic_cmpswap_x2 v[6:7], v51, v[4:7], s[6:7] offset:24 glc
	s_waitcnt vmcnt(0)
	v_cmp_ne_u64_e32 vcc, v[6:7], v[10:11]
	s_and_b64 exec, exec, vcc
	s_cbranch_execz .LBB3_34
; %bb.114:                              ;   in Loop: Header=BB3_35 Depth=2
	s_mov_b64 s[4:5], 0
.LBB3_115:                              ;   Parent Loop BB3_3 Depth=1
                                        ;     Parent Loop BB3_35 Depth=2
                                        ; =>    This Inner Loop Header: Depth=3
	s_sleep 1
	global_store_dwordx2 v[8:9], v[6:7], off
	buffer_wbl2
	s_waitcnt vmcnt(0)
	global_atomic_cmpswap_x2 v[10:11], v51, v[4:7], s[6:7] offset:24 glc
	s_waitcnt vmcnt(0)
	v_cmp_eq_u64_e32 vcc, v[10:11], v[6:7]
	s_or_b64 s[4:5], vcc, s[4:5]
	v_pk_mov_b32 v[6:7], v[10:11], v[10:11] op_sel:[0,1]
	s_andn2_b64 exec, exec, s[4:5]
	s_cbranch_execnz .LBB3_115
	s_branch .LBB3_34
.LBB3_116:                              ;   in Loop: Header=BB3_3 Depth=1
	s_branch .LBB3_145
.LBB3_117:                              ;   in Loop: Header=BB3_3 Depth=1
                                        ; implicit-def: $vgpr2_vgpr3
	s_cbranch_execz .LBB3_145
; %bb.118:                              ;   in Loop: Header=BB3_3 Depth=1
	v_readfirstlane_b32 s4, v57
	v_cmp_eq_u32_e64 s[4:5], s4, v57
	s_waitcnt vmcnt(0)
	v_pk_mov_b32 v[2:3], 0, 0
	s_and_saveexec_b64 s[8:9], s[4:5]
	s_cbranch_execz .LBB3_124
; %bb.119:                              ;   in Loop: Header=BB3_3 Depth=1
	global_load_dwordx2 v[4:5], v51, s[6:7] offset:24 glc
	s_waitcnt vmcnt(0)
	buffer_invl2
	buffer_wbinvl1_vol
	global_load_dwordx2 v[2:3], v51, s[6:7] offset:40
	global_load_dwordx2 v[6:7], v51, s[6:7]
	s_waitcnt vmcnt(1)
	v_and_b32_e32 v2, v2, v4
	v_and_b32_e32 v3, v3, v5
	v_mul_lo_u32 v3, v3, 24
	v_mul_hi_u32 v8, v2, 24
	v_mul_lo_u32 v2, v2, 24
	v_add_u32_e32 v3, v8, v3
	s_waitcnt vmcnt(0)
	v_add_co_u32_e32 v2, vcc, v6, v2
	v_addc_co_u32_e32 v3, vcc, v7, v3, vcc
	global_load_dwordx2 v[2:3], v[2:3], off glc
	s_waitcnt vmcnt(0)
	global_atomic_cmpswap_x2 v[2:3], v51, v[2:5], s[6:7] offset:24 glc
	s_waitcnt vmcnt(0)
	buffer_invl2
	buffer_wbinvl1_vol
	v_cmp_ne_u64_e32 vcc, v[2:3], v[4:5]
	s_and_saveexec_b64 s[10:11], vcc
	s_cbranch_execz .LBB3_123
; %bb.120:                              ;   in Loop: Header=BB3_3 Depth=1
	s_mov_b64 s[12:13], 0
.LBB3_121:                              ;   Parent Loop BB3_3 Depth=1
                                        ; =>  This Inner Loop Header: Depth=2
	s_sleep 1
	global_load_dwordx2 v[6:7], v51, s[6:7] offset:40
	global_load_dwordx2 v[8:9], v51, s[6:7]
	v_pk_mov_b32 v[4:5], v[2:3], v[2:3] op_sel:[0,1]
	s_waitcnt vmcnt(1)
	v_and_b32_e32 v2, v6, v4
	s_waitcnt vmcnt(0)
	v_mad_u64_u32 v[2:3], s[14:15], v2, 24, v[8:9]
	v_and_b32_e32 v7, v7, v5
	v_mov_b32_e32 v6, v3
	v_mad_u64_u32 v[6:7], s[14:15], v7, 24, v[6:7]
	v_mov_b32_e32 v3, v6
	global_load_dwordx2 v[2:3], v[2:3], off glc
	s_waitcnt vmcnt(0)
	global_atomic_cmpswap_x2 v[2:3], v51, v[2:5], s[6:7] offset:24 glc
	s_waitcnt vmcnt(0)
	buffer_invl2
	buffer_wbinvl1_vol
	v_cmp_eq_u64_e32 vcc, v[2:3], v[4:5]
	s_or_b64 s[12:13], vcc, s[12:13]
	s_andn2_b64 exec, exec, s[12:13]
	s_cbranch_execnz .LBB3_121
; %bb.122:                              ;   in Loop: Header=BB3_3 Depth=1
	s_or_b64 exec, exec, s[12:13]
.LBB3_123:                              ;   in Loop: Header=BB3_3 Depth=1
	s_or_b64 exec, exec, s[10:11]
.LBB3_124:                              ;   in Loop: Header=BB3_3 Depth=1
	s_or_b64 exec, exec, s[8:9]
	global_load_dwordx2 v[8:9], v51, s[6:7] offset:40
	global_load_dwordx4 v[4:7], v51, s[6:7]
	v_readfirstlane_b32 s8, v2
	v_readfirstlane_b32 s9, v3
	s_mov_b64 s[10:11], exec
	s_waitcnt vmcnt(1)
	v_readfirstlane_b32 s12, v8
	v_readfirstlane_b32 s13, v9
	s_and_b64 s[12:13], s[8:9], s[12:13]
	s_mul_i32 s14, s13, 24
	s_mul_hi_u32 s15, s12, 24
	s_mul_i32 s16, s12, 24
	s_add_i32 s14, s15, s14
	v_mov_b32_e32 v2, s14
	s_waitcnt vmcnt(0)
	v_add_co_u32_e32 v8, vcc, s16, v4
	v_addc_co_u32_e32 v9, vcc, v5, v2, vcc
	s_and_saveexec_b64 s[14:15], s[4:5]
	s_cbranch_execz .LBB3_126
; %bb.125:                              ;   in Loop: Header=BB3_3 Depth=1
	v_pk_mov_b32 v[40:41], s[10:11], s[10:11] op_sel:[0,1]
	global_store_dwordx4 v[8:9], v[40:43], off offset:8
.LBB3_126:                              ;   in Loop: Header=BB3_3 Depth=1
	s_or_b64 exec, exec, s[14:15]
	s_lshl_b64 s[10:11], s[12:13], 12
	v_mov_b32_e32 v2, s11
	v_add_co_u32_e32 v6, vcc, s10, v6
	v_addc_co_u32_e32 v7, vcc, v7, v2, vcc
	v_and_or_b32 v0, v0, s71, 32
	v_mov_b32_e32 v2, v51
	v_mov_b32_e32 v3, v51
	v_readfirstlane_b32 s10, v6
	v_readfirstlane_b32 s11, v7
	s_mov_b32 s29, s28
	s_mov_b32 s30, s28
	;; [unrolled: 1-line block ×3, first 2 shown]
	s_nop 1
	global_store_dwordx4 v28, v[0:3], s[10:11]
	s_nop 0
	v_pk_mov_b32 v[0:1], s[28:29], s[28:29] op_sel:[0,1]
	v_pk_mov_b32 v[2:3], s[30:31], s[30:31] op_sel:[0,1]
	global_store_dwordx4 v28, v[0:3], s[10:11] offset:16
	global_store_dwordx4 v28, v[0:3], s[10:11] offset:32
	;; [unrolled: 1-line block ×3, first 2 shown]
	s_and_saveexec_b64 s[10:11], s[4:5]
	s_cbranch_execz .LBB3_134
; %bb.127:                              ;   in Loop: Header=BB3_3 Depth=1
	global_load_dwordx2 v[12:13], v51, s[6:7] offset:32 glc
	global_load_dwordx2 v[0:1], v51, s[6:7] offset:40
	v_mov_b32_e32 v10, s8
	v_mov_b32_e32 v11, s9
	s_waitcnt vmcnt(0)
	v_readfirstlane_b32 s12, v0
	v_readfirstlane_b32 s13, v1
	s_and_b64 s[12:13], s[12:13], s[8:9]
	s_mul_i32 s13, s13, 24
	s_mul_hi_u32 s14, s12, 24
	s_mul_i32 s12, s12, 24
	s_add_i32 s13, s14, s13
	v_mov_b32_e32 v0, s13
	v_add_co_u32_e32 v4, vcc, s12, v4
	v_addc_co_u32_e32 v5, vcc, v5, v0, vcc
	global_store_dwordx2 v[4:5], v[12:13], off
	buffer_wbl2
	s_waitcnt vmcnt(0)
	global_atomic_cmpswap_x2 v[2:3], v51, v[10:13], s[6:7] offset:32 glc
	s_waitcnt vmcnt(0)
	v_cmp_ne_u64_e32 vcc, v[2:3], v[12:13]
	s_and_saveexec_b64 s[12:13], vcc
	s_cbranch_execz .LBB3_130
; %bb.128:                              ;   in Loop: Header=BB3_3 Depth=1
	s_mov_b64 s[14:15], 0
.LBB3_129:                              ;   Parent Loop BB3_3 Depth=1
                                        ; =>  This Inner Loop Header: Depth=2
	s_sleep 1
	global_store_dwordx2 v[4:5], v[2:3], off
	v_mov_b32_e32 v0, s8
	v_mov_b32_e32 v1, s9
	buffer_wbl2
	s_waitcnt vmcnt(0)
	global_atomic_cmpswap_x2 v[0:1], v51, v[0:3], s[6:7] offset:32 glc
	s_waitcnt vmcnt(0)
	v_cmp_eq_u64_e32 vcc, v[0:1], v[2:3]
	s_or_b64 s[14:15], vcc, s[14:15]
	v_pk_mov_b32 v[2:3], v[0:1], v[0:1] op_sel:[0,1]
	s_andn2_b64 exec, exec, s[14:15]
	s_cbranch_execnz .LBB3_129
.LBB3_130:                              ;   in Loop: Header=BB3_3 Depth=1
	s_or_b64 exec, exec, s[12:13]
	global_load_dwordx2 v[0:1], v51, s[6:7] offset:16
	s_mov_b64 s[14:15], exec
	v_mbcnt_lo_u32_b32 v2, s14, 0
	v_mbcnt_hi_u32_b32 v2, s15, v2
	v_cmp_eq_u32_e32 vcc, 0, v2
	s_and_saveexec_b64 s[12:13], vcc
	s_cbranch_execz .LBB3_132
; %bb.131:                              ;   in Loop: Header=BB3_3 Depth=1
	s_bcnt1_i32_b64 s14, s[14:15]
	v_mov_b32_e32 v50, s14
	buffer_wbl2
	s_waitcnt vmcnt(0)
	global_atomic_add_x2 v[0:1], v[50:51], off offset:8
.LBB3_132:                              ;   in Loop: Header=BB3_3 Depth=1
	s_or_b64 exec, exec, s[12:13]
	s_waitcnt vmcnt(0)
	global_load_dwordx2 v[2:3], v[0:1], off offset:16
	s_waitcnt vmcnt(0)
	v_cmp_eq_u64_e32 vcc, 0, v[2:3]
	s_cbranch_vccnz .LBB3_134
; %bb.133:                              ;   in Loop: Header=BB3_3 Depth=1
	global_load_dword v50, v[0:1], off offset:24
	s_waitcnt vmcnt(0)
	v_and_b32_e32 v0, 0xffffff, v50
	v_readfirstlane_b32 m0, v0
	buffer_wbl2
	global_store_dwordx2 v[2:3], v[50:51], off
	s_sendmsg sendmsg(MSG_INTERRUPT)
.LBB3_134:                              ;   in Loop: Header=BB3_3 Depth=1
	s_or_b64 exec, exec, s[10:11]
	v_add_co_u32_e32 v0, vcc, v6, v28
	v_addc_co_u32_e32 v1, vcc, 0, v7, vcc
	s_branch .LBB3_138
.LBB3_135:                              ;   in Loop: Header=BB3_138 Depth=2
	s_or_b64 exec, exec, s[10:11]
	v_readfirstlane_b32 s10, v2
	s_cmp_eq_u32 s10, 0
	s_cbranch_scc1 .LBB3_137
; %bb.136:                              ;   in Loop: Header=BB3_138 Depth=2
	s_sleep 1
	s_cbranch_execnz .LBB3_138
	s_branch .LBB3_140
.LBB3_137:                              ;   in Loop: Header=BB3_3 Depth=1
	s_branch .LBB3_140
.LBB3_138:                              ;   Parent Loop BB3_3 Depth=1
                                        ; =>  This Inner Loop Header: Depth=2
	v_mov_b32_e32 v2, 1
	s_and_saveexec_b64 s[10:11], s[4:5]
	s_cbranch_execz .LBB3_135
; %bb.139:                              ;   in Loop: Header=BB3_138 Depth=2
	global_load_dword v2, v[8:9], off offset:20 glc
	s_waitcnt vmcnt(0)
	buffer_invl2
	buffer_wbinvl1_vol
	v_and_b32_e32 v2, 1, v2
	s_branch .LBB3_135
.LBB3_140:                              ;   in Loop: Header=BB3_3 Depth=1
	global_load_dwordx2 v[2:3], v[0:1], off
	s_and_saveexec_b64 s[10:11], s[4:5]
	s_cbranch_execz .LBB3_144
; %bb.141:                              ;   in Loop: Header=BB3_3 Depth=1
	global_load_dwordx2 v[0:1], v51, s[6:7] offset:40
	global_load_dwordx2 v[8:9], v51, s[6:7] offset:24 glc
	global_load_dwordx2 v[10:11], v51, s[6:7]
	v_mov_b32_e32 v5, s9
	s_waitcnt vmcnt(2)
	v_add_co_u32_e32 v7, vcc, 1, v0
	v_addc_co_u32_e32 v12, vcc, 0, v1, vcc
	v_add_co_u32_e32 v4, vcc, s8, v7
	v_addc_co_u32_e32 v5, vcc, v12, v5, vcc
	v_cmp_eq_u64_e32 vcc, 0, v[4:5]
	v_cndmask_b32_e32 v5, v5, v12, vcc
	v_cndmask_b32_e32 v4, v4, v7, vcc
	v_and_b32_e32 v1, v5, v1
	v_and_b32_e32 v0, v4, v0
	v_mul_lo_u32 v1, v1, 24
	v_mul_hi_u32 v7, v0, 24
	v_mul_lo_u32 v0, v0, 24
	v_add_u32_e32 v1, v7, v1
	s_waitcnt vmcnt(0)
	v_add_co_u32_e32 v0, vcc, v10, v0
	v_addc_co_u32_e32 v1, vcc, v11, v1, vcc
	v_mov_b32_e32 v6, v8
	global_store_dwordx2 v[0:1], v[8:9], off
	v_mov_b32_e32 v7, v9
	buffer_wbl2
	s_waitcnt vmcnt(0)
	global_atomic_cmpswap_x2 v[6:7], v51, v[4:7], s[6:7] offset:24 glc
	s_waitcnt vmcnt(0)
	v_cmp_ne_u64_e32 vcc, v[6:7], v[8:9]
	s_and_b64 exec, exec, vcc
	s_cbranch_execz .LBB3_144
; %bb.142:                              ;   in Loop: Header=BB3_3 Depth=1
	s_mov_b64 s[4:5], 0
.LBB3_143:                              ;   Parent Loop BB3_3 Depth=1
                                        ; =>  This Inner Loop Header: Depth=2
	s_sleep 1
	global_store_dwordx2 v[0:1], v[6:7], off
	buffer_wbl2
	s_waitcnt vmcnt(0)
	global_atomic_cmpswap_x2 v[8:9], v51, v[4:7], s[6:7] offset:24 glc
	s_waitcnt vmcnt(0)
	v_cmp_eq_u64_e32 vcc, v[8:9], v[6:7]
	s_or_b64 s[4:5], vcc, s[4:5]
	v_pk_mov_b32 v[6:7], v[8:9], v[8:9] op_sel:[0,1]
	s_andn2_b64 exec, exec, s[4:5]
	s_cbranch_execnz .LBB3_143
.LBB3_144:                              ;   in Loop: Header=BB3_3 Depth=1
	s_or_b64 exec, exec, s[10:11]
.LBB3_145:                              ;   in Loop: Header=BB3_3 Depth=1
	v_readfirstlane_b32 s4, v57
	v_cmp_eq_u32_e64 s[4:5], s4, v57
	s_waitcnt vmcnt(0)
	v_pk_mov_b32 v[0:1], 0, 0
	s_and_saveexec_b64 s[8:9], s[4:5]
	s_cbranch_execz .LBB3_151
; %bb.146:                              ;   in Loop: Header=BB3_3 Depth=1
	global_load_dwordx2 v[6:7], v51, s[6:7] offset:24 glc
	s_waitcnt vmcnt(0)
	buffer_invl2
	buffer_wbinvl1_vol
	global_load_dwordx2 v[0:1], v51, s[6:7] offset:40
	global_load_dwordx2 v[4:5], v51, s[6:7]
	s_waitcnt vmcnt(1)
	v_and_b32_e32 v0, v0, v6
	v_and_b32_e32 v1, v1, v7
	v_mul_lo_u32 v1, v1, 24
	v_mul_hi_u32 v8, v0, 24
	v_mul_lo_u32 v0, v0, 24
	v_add_u32_e32 v1, v8, v1
	s_waitcnt vmcnt(0)
	v_add_co_u32_e32 v0, vcc, v4, v0
	v_addc_co_u32_e32 v1, vcc, v5, v1, vcc
	global_load_dwordx2 v[4:5], v[0:1], off glc
	s_waitcnt vmcnt(0)
	global_atomic_cmpswap_x2 v[0:1], v51, v[4:7], s[6:7] offset:24 glc
	s_waitcnt vmcnt(0)
	buffer_invl2
	buffer_wbinvl1_vol
	v_cmp_ne_u64_e32 vcc, v[0:1], v[6:7]
	s_and_saveexec_b64 s[10:11], vcc
	s_cbranch_execz .LBB3_150
; %bb.147:                              ;   in Loop: Header=BB3_3 Depth=1
	s_mov_b64 s[12:13], 0
.LBB3_148:                              ;   Parent Loop BB3_3 Depth=1
                                        ; =>  This Inner Loop Header: Depth=2
	s_sleep 1
	global_load_dwordx2 v[4:5], v51, s[6:7] offset:40
	global_load_dwordx2 v[8:9], v51, s[6:7]
	v_pk_mov_b32 v[6:7], v[0:1], v[0:1] op_sel:[0,1]
	s_waitcnt vmcnt(1)
	v_and_b32_e32 v0, v4, v6
	s_waitcnt vmcnt(0)
	v_mad_u64_u32 v[0:1], s[14:15], v0, 24, v[8:9]
	v_and_b32_e32 v5, v5, v7
	v_mov_b32_e32 v4, v1
	v_mad_u64_u32 v[4:5], s[14:15], v5, 24, v[4:5]
	v_mov_b32_e32 v1, v4
	global_load_dwordx2 v[4:5], v[0:1], off glc
	s_waitcnt vmcnt(0)
	global_atomic_cmpswap_x2 v[0:1], v51, v[4:7], s[6:7] offset:24 glc
	s_waitcnt vmcnt(0)
	buffer_invl2
	buffer_wbinvl1_vol
	v_cmp_eq_u64_e32 vcc, v[0:1], v[6:7]
	s_or_b64 s[12:13], vcc, s[12:13]
	s_andn2_b64 exec, exec, s[12:13]
	s_cbranch_execnz .LBB3_148
; %bb.149:                              ;   in Loop: Header=BB3_3 Depth=1
	s_or_b64 exec, exec, s[12:13]
.LBB3_150:                              ;   in Loop: Header=BB3_3 Depth=1
	s_or_b64 exec, exec, s[10:11]
.LBB3_151:                              ;   in Loop: Header=BB3_3 Depth=1
	s_or_b64 exec, exec, s[8:9]
	global_load_dwordx2 v[4:5], v51, s[6:7] offset:40
	global_load_dwordx4 v[6:9], v51, s[6:7]
	v_readfirstlane_b32 s8, v0
	v_readfirstlane_b32 s9, v1
	s_mov_b64 s[10:11], exec
	s_waitcnt vmcnt(1)
	v_readfirstlane_b32 s12, v4
	v_readfirstlane_b32 s13, v5
	s_and_b64 s[12:13], s[8:9], s[12:13]
	s_mul_i32 s14, s13, 24
	s_mul_hi_u32 s15, s12, 24
	s_mul_i32 s16, s12, 24
	s_add_i32 s14, s15, s14
	v_mov_b32_e32 v0, s14
	s_waitcnt vmcnt(0)
	v_add_co_u32_e32 v10, vcc, s16, v6
	v_addc_co_u32_e32 v11, vcc, v7, v0, vcc
	s_and_saveexec_b64 s[14:15], s[4:5]
	s_cbranch_execz .LBB3_153
; %bb.152:                              ;   in Loop: Header=BB3_3 Depth=1
	v_pk_mov_b32 v[40:41], s[10:11], s[10:11] op_sel:[0,1]
	global_store_dwordx4 v[10:11], v[40:43], off offset:8
.LBB3_153:                              ;   in Loop: Header=BB3_3 Depth=1
	s_or_b64 exec, exec, s[14:15]
	s_lshl_b64 s[10:11], s[12:13], 12
	v_mov_b32_e32 v0, s11
	v_add_co_u32_e32 v8, vcc, s10, v8
	v_addc_co_u32_e32 v9, vcc, v9, v0, vcc
	v_and_or_b32 v2, v2, s71, 32
	v_mov_b32_e32 v4, v54
	v_mov_b32_e32 v5, v55
	v_readfirstlane_b32 s10, v8
	v_readfirstlane_b32 s11, v9
	s_mov_b32 s29, s28
	s_mov_b32 s30, s28
	;; [unrolled: 1-line block ×3, first 2 shown]
	s_nop 1
	global_store_dwordx4 v28, v[2:5], s[10:11]
	v_pk_mov_b32 v[0:1], s[28:29], s[28:29] op_sel:[0,1]
	v_pk_mov_b32 v[2:3], s[30:31], s[30:31] op_sel:[0,1]
	global_store_dwordx4 v28, v[0:3], s[10:11] offset:16
	global_store_dwordx4 v28, v[0:3], s[10:11] offset:32
	;; [unrolled: 1-line block ×3, first 2 shown]
	s_and_saveexec_b64 s[10:11], s[4:5]
	s_cbranch_execz .LBB3_161
; %bb.154:                              ;   in Loop: Header=BB3_3 Depth=1
	global_load_dwordx2 v[14:15], v51, s[6:7] offset:32 glc
	global_load_dwordx2 v[0:1], v51, s[6:7] offset:40
	v_mov_b32_e32 v12, s8
	v_mov_b32_e32 v13, s9
	s_waitcnt vmcnt(0)
	v_readfirstlane_b32 s12, v0
	v_readfirstlane_b32 s13, v1
	s_and_b64 s[12:13], s[12:13], s[8:9]
	s_mul_i32 s13, s13, 24
	s_mul_hi_u32 s14, s12, 24
	s_mul_i32 s12, s12, 24
	s_add_i32 s13, s14, s13
	v_mov_b32_e32 v0, s13
	v_add_co_u32_e32 v4, vcc, s12, v6
	v_addc_co_u32_e32 v5, vcc, v7, v0, vcc
	global_store_dwordx2 v[4:5], v[14:15], off
	buffer_wbl2
	s_waitcnt vmcnt(0)
	global_atomic_cmpswap_x2 v[2:3], v51, v[12:15], s[6:7] offset:32 glc
	s_waitcnt vmcnt(0)
	v_cmp_ne_u64_e32 vcc, v[2:3], v[14:15]
	s_and_saveexec_b64 s[12:13], vcc
	s_cbranch_execz .LBB3_157
; %bb.155:                              ;   in Loop: Header=BB3_3 Depth=1
	s_mov_b64 s[14:15], 0
.LBB3_156:                              ;   Parent Loop BB3_3 Depth=1
                                        ; =>  This Inner Loop Header: Depth=2
	s_sleep 1
	global_store_dwordx2 v[4:5], v[2:3], off
	v_mov_b32_e32 v0, s8
	v_mov_b32_e32 v1, s9
	buffer_wbl2
	s_waitcnt vmcnt(0)
	global_atomic_cmpswap_x2 v[0:1], v51, v[0:3], s[6:7] offset:32 glc
	s_waitcnt vmcnt(0)
	v_cmp_eq_u64_e32 vcc, v[0:1], v[2:3]
	s_or_b64 s[14:15], vcc, s[14:15]
	v_pk_mov_b32 v[2:3], v[0:1], v[0:1] op_sel:[0,1]
	s_andn2_b64 exec, exec, s[14:15]
	s_cbranch_execnz .LBB3_156
.LBB3_157:                              ;   in Loop: Header=BB3_3 Depth=1
	s_or_b64 exec, exec, s[12:13]
	global_load_dwordx2 v[0:1], v51, s[6:7] offset:16
	s_mov_b64 s[14:15], exec
	v_mbcnt_lo_u32_b32 v2, s14, 0
	v_mbcnt_hi_u32_b32 v2, s15, v2
	v_cmp_eq_u32_e32 vcc, 0, v2
	s_and_saveexec_b64 s[12:13], vcc
	s_cbranch_execz .LBB3_159
; %bb.158:                              ;   in Loop: Header=BB3_3 Depth=1
	s_bcnt1_i32_b64 s14, s[14:15]
	v_mov_b32_e32 v50, s14
	buffer_wbl2
	s_waitcnt vmcnt(0)
	global_atomic_add_x2 v[0:1], v[50:51], off offset:8
.LBB3_159:                              ;   in Loop: Header=BB3_3 Depth=1
	s_or_b64 exec, exec, s[12:13]
	s_waitcnt vmcnt(0)
	global_load_dwordx2 v[2:3], v[0:1], off offset:16
	s_waitcnt vmcnt(0)
	v_cmp_eq_u64_e32 vcc, 0, v[2:3]
	s_cbranch_vccnz .LBB3_161
; %bb.160:                              ;   in Loop: Header=BB3_3 Depth=1
	global_load_dword v50, v[0:1], off offset:24
	s_waitcnt vmcnt(0)
	v_and_b32_e32 v0, 0xffffff, v50
	v_readfirstlane_b32 m0, v0
	buffer_wbl2
	global_store_dwordx2 v[2:3], v[50:51], off
	s_sendmsg sendmsg(MSG_INTERRUPT)
.LBB3_161:                              ;   in Loop: Header=BB3_3 Depth=1
	s_or_b64 exec, exec, s[10:11]
	v_add_co_u32_e32 v0, vcc, v8, v28
	v_addc_co_u32_e32 v1, vcc, 0, v9, vcc
	s_branch .LBB3_165
.LBB3_162:                              ;   in Loop: Header=BB3_165 Depth=2
	s_or_b64 exec, exec, s[10:11]
	v_readfirstlane_b32 s10, v2
	s_cmp_eq_u32 s10, 0
	s_cbranch_scc1 .LBB3_164
; %bb.163:                              ;   in Loop: Header=BB3_165 Depth=2
	s_sleep 1
	s_cbranch_execnz .LBB3_165
	s_branch .LBB3_167
.LBB3_164:                              ;   in Loop: Header=BB3_3 Depth=1
	s_branch .LBB3_167
.LBB3_165:                              ;   Parent Loop BB3_3 Depth=1
                                        ; =>  This Inner Loop Header: Depth=2
	v_mov_b32_e32 v2, 1
	s_and_saveexec_b64 s[10:11], s[4:5]
	s_cbranch_execz .LBB3_162
; %bb.166:                              ;   in Loop: Header=BB3_165 Depth=2
	global_load_dword v2, v[10:11], off offset:20 glc
	s_waitcnt vmcnt(0)
	buffer_invl2
	buffer_wbinvl1_vol
	v_and_b32_e32 v2, 1, v2
	s_branch .LBB3_162
.LBB3_167:                              ;   in Loop: Header=BB3_3 Depth=1
	global_load_dwordx2 v[0:1], v[0:1], off
	s_and_saveexec_b64 s[10:11], s[4:5]
	s_cbranch_execz .LBB3_171
; %bb.168:                              ;   in Loop: Header=BB3_3 Depth=1
	global_load_dwordx2 v[6:7], v51, s[6:7] offset:40
	global_load_dwordx2 v[8:9], v51, s[6:7] offset:24 glc
	global_load_dwordx2 v[10:11], v51, s[6:7]
	v_mov_b32_e32 v3, s9
	s_waitcnt vmcnt(2)
	v_add_co_u32_e32 v5, vcc, 1, v6
	v_addc_co_u32_e32 v12, vcc, 0, v7, vcc
	v_add_co_u32_e32 v2, vcc, s8, v5
	v_addc_co_u32_e32 v3, vcc, v12, v3, vcc
	v_cmp_eq_u64_e32 vcc, 0, v[2:3]
	v_cndmask_b32_e32 v3, v3, v12, vcc
	v_cndmask_b32_e32 v2, v2, v5, vcc
	v_and_b32_e32 v5, v3, v7
	v_and_b32_e32 v6, v2, v6
	v_mul_lo_u32 v5, v5, 24
	v_mul_hi_u32 v7, v6, 24
	v_mul_lo_u32 v6, v6, 24
	v_add_u32_e32 v5, v7, v5
	s_waitcnt vmcnt(0)
	v_add_co_u32_e32 v6, vcc, v10, v6
	v_addc_co_u32_e32 v7, vcc, v11, v5, vcc
	v_mov_b32_e32 v4, v8
	global_store_dwordx2 v[6:7], v[8:9], off
	v_mov_b32_e32 v5, v9
	buffer_wbl2
	s_waitcnt vmcnt(0)
	global_atomic_cmpswap_x2 v[4:5], v51, v[2:5], s[6:7] offset:24 glc
	s_waitcnt vmcnt(0)
	v_cmp_ne_u64_e32 vcc, v[4:5], v[8:9]
	s_and_b64 exec, exec, vcc
	s_cbranch_execz .LBB3_171
; %bb.169:                              ;   in Loop: Header=BB3_3 Depth=1
	s_mov_b64 s[4:5], 0
.LBB3_170:                              ;   Parent Loop BB3_3 Depth=1
                                        ; =>  This Inner Loop Header: Depth=2
	s_sleep 1
	global_store_dwordx2 v[6:7], v[4:5], off
	buffer_wbl2
	s_waitcnt vmcnt(0)
	global_atomic_cmpswap_x2 v[8:9], v51, v[2:5], s[6:7] offset:24 glc
	s_waitcnt vmcnt(0)
	v_cmp_eq_u64_e32 vcc, v[8:9], v[4:5]
	s_or_b64 s[4:5], vcc, s[4:5]
	v_pk_mov_b32 v[4:5], v[8:9], v[8:9] op_sel:[0,1]
	s_andn2_b64 exec, exec, s[4:5]
	s_cbranch_execnz .LBB3_170
.LBB3_171:                              ;   in Loop: Header=BB3_3 Depth=1
	s_or_b64 exec, exec, s[10:11]
	v_mul_lo_u32 v2, v26, v26
	v_mul_lo_u32 v3, v27, v27
	v_sub_u32_e32 v4, v2, v3
	v_cvt_f32_u32_e32 v5, v4
	v_add_u32_e32 v2, v3, v2
	v_sub_u32_e32 v3, 0, v4
	s_mov_b64 s[8:9], s[26:27]
	v_rcp_iflag_f32_e32 v5, v5
	s_getpc_b64 s[24:25]
	s_add_u32 s24, s24, __ockl_printf_append_args@rel32@lo+4
	s_addc_u32 s25, s25, __ockl_printf_append_args@rel32@hi+12
	v_mul_f32_e32 v5, 0x4f7ffffe, v5
	v_cvt_u32_f32_e32 v5, v5
	v_mul_lo_u32 v3, v3, v5
	v_mul_hi_u32 v3, v5, v3
	v_add_u32_e32 v3, v5, v3
	v_mul_hi_u32 v3, v2, v3
	v_mul_lo_u32 v5, v3, v4
	v_sub_u32_e32 v2, v2, v5
	v_add_u32_e32 v6, 1, v3
	v_cmp_ge_u32_e32 vcc, v2, v4
	v_sub_u32_e32 v5, v2, v4
	v_cndmask_b32_e32 v3, v3, v6, vcc
	v_cndmask_b32_e32 v2, v2, v5, vcc
	v_add_u32_e32 v5, 1, v3
	v_cmp_ge_u32_e32 vcc, v2, v4
	v_cndmask_b32_e32 v2, v3, v5, vcc
	v_cvt_f32_u32_e32 v2, v2
	v_mov_b32_e32 v3, v51
	v_mov_b32_e32 v4, v51
	v_cvt_f64_f32_e32 v[16:17], v2
	v_mov_b32_e32 v2, v54
	s_swappc_b64 s[30:31], s[24:25]
	s_mov_b64 s[8:9], s[26:27]
	v_mov_b32_e32 v2, v16
	v_mov_b32_e32 v3, v17
	;; [unrolled: 1-line block ×3, first 2 shown]
	s_swappc_b64 s[30:31], s[24:25]
	s_mov_b64 s[8:9], s[26:27]
	v_mov_b32_e32 v2, v16
	v_mov_b32_e32 v3, v17
	;; [unrolled: 1-line block ×3, first 2 shown]
	s_swappc_b64 s[30:31], s[24:25]
                                        ; implicit-def: $vgpr26
.LBB3_172:                              ;   in Loop: Header=BB3_3 Depth=1
	s_andn2_saveexec_b64 s[6:7], s[22:23]
	s_cbranch_execz .LBB3_195
; %bb.173:                              ;   in Loop: Header=BB3_3 Depth=1
	flat_load_dword v28, v[46:47]
	s_load_dwordx2 s[8:9], s[26:27], 0x50
	v_readfirstlane_b32 s4, v57
	v_cmp_eq_u32_e64 s[4:5], s4, v57
	v_pk_mov_b32 v[4:5], 0, 0
	s_and_saveexec_b64 s[10:11], s[4:5]
	s_cbranch_execz .LBB3_179
; %bb.174:                              ;   in Loop: Header=BB3_3 Depth=1
	s_waitcnt lgkmcnt(0)
	global_load_dwordx2 v[2:3], v51, s[8:9] offset:24 glc
	s_waitcnt vmcnt(0)
	buffer_invl2
	buffer_wbinvl1_vol
	global_load_dwordx2 v[0:1], v51, s[8:9] offset:40
	global_load_dwordx2 v[4:5], v51, s[8:9]
	s_waitcnt vmcnt(1)
	v_and_b32_e32 v0, v0, v2
	v_and_b32_e32 v1, v1, v3
	v_mul_lo_u32 v1, v1, 24
	v_mul_hi_u32 v6, v0, 24
	v_mul_lo_u32 v0, v0, 24
	v_add_u32_e32 v1, v6, v1
	s_waitcnt vmcnt(0)
	v_add_co_u32_e32 v0, vcc, v4, v0
	v_addc_co_u32_e32 v1, vcc, v5, v1, vcc
	global_load_dwordx2 v[0:1], v[0:1], off glc
	s_waitcnt vmcnt(0)
	global_atomic_cmpswap_x2 v[4:5], v51, v[0:3], s[8:9] offset:24 glc
	s_waitcnt vmcnt(0)
	buffer_invl2
	buffer_wbinvl1_vol
	v_cmp_ne_u64_e32 vcc, v[4:5], v[2:3]
	s_and_saveexec_b64 s[12:13], vcc
	s_cbranch_execz .LBB3_178
; %bb.175:                              ;   in Loop: Header=BB3_3 Depth=1
	s_mov_b64 s[14:15], 0
.LBB3_176:                              ;   Parent Loop BB3_3 Depth=1
                                        ; =>  This Inner Loop Header: Depth=2
	s_sleep 1
	global_load_dwordx2 v[0:1], v51, s[8:9] offset:40
	global_load_dwordx2 v[6:7], v51, s[8:9]
	v_pk_mov_b32 v[2:3], v[4:5], v[4:5] op_sel:[0,1]
	s_waitcnt vmcnt(1)
	v_and_b32_e32 v0, v0, v2
	v_and_b32_e32 v5, v1, v3
	s_waitcnt vmcnt(0)
	v_mad_u64_u32 v[0:1], s[16:17], v0, 24, v[6:7]
	v_mov_b32_e32 v4, v1
	v_mad_u64_u32 v[4:5], s[16:17], v5, 24, v[4:5]
	v_mov_b32_e32 v1, v4
	global_load_dwordx2 v[0:1], v[0:1], off glc
	s_waitcnt vmcnt(0)
	global_atomic_cmpswap_x2 v[4:5], v51, v[0:3], s[8:9] offset:24 glc
	s_waitcnt vmcnt(0)
	buffer_invl2
	buffer_wbinvl1_vol
	v_cmp_eq_u64_e32 vcc, v[4:5], v[2:3]
	s_or_b64 s[14:15], vcc, s[14:15]
	s_andn2_b64 exec, exec, s[14:15]
	s_cbranch_execnz .LBB3_176
; %bb.177:                              ;   in Loop: Header=BB3_3 Depth=1
	s_or_b64 exec, exec, s[14:15]
.LBB3_178:                              ;   in Loop: Header=BB3_3 Depth=1
	s_or_b64 exec, exec, s[12:13]
.LBB3_179:                              ;   in Loop: Header=BB3_3 Depth=1
	s_or_b64 exec, exec, s[10:11]
	s_waitcnt lgkmcnt(0)
	global_load_dwordx2 v[6:7], v51, s[8:9] offset:40
	global_load_dwordx4 v[0:3], v51, s[8:9]
	v_readfirstlane_b32 s10, v4
	v_readfirstlane_b32 s11, v5
	s_mov_b64 s[12:13], exec
	s_waitcnt vmcnt(0)
	v_readfirstlane_b32 s14, v6
	v_readfirstlane_b32 s15, v7
	s_and_b64 s[14:15], s[10:11], s[14:15]
	s_mul_i32 s16, s15, 24
	s_mul_hi_u32 s17, s14, 24
	s_mul_i32 s22, s14, 24
	s_add_i32 s16, s17, s16
	v_mov_b32_e32 v5, s16
	v_add_co_u32_e32 v4, vcc, s22, v0
	v_addc_co_u32_e32 v5, vcc, v1, v5, vcc
	s_and_saveexec_b64 s[16:17], s[4:5]
	s_cbranch_execz .LBB3_181
; %bb.180:                              ;   in Loop: Header=BB3_3 Depth=1
	v_pk_mov_b32 v[40:41], s[12:13], s[12:13] op_sel:[0,1]
	global_store_dwordx4 v[4:5], v[40:43], off offset:8
.LBB3_181:                              ;   in Loop: Header=BB3_3 Depth=1
	s_or_b64 exec, exec, s[16:17]
	s_lshl_b64 s[12:13], s[14:15], 12
	v_mov_b32_e32 v7, s13
	v_add_co_u32_e32 v6, vcc, s12, v2
	s_mov_b32 s29, s28
	v_addc_co_u32_e32 v7, vcc, v3, v7, vcc
	s_mov_b32 s30, s28
	s_mov_b32 s31, s28
	v_pk_mov_b32 v[8:9], s[28:29], s[28:29] op_sel:[0,1]
	v_lshlrev_b32_e32 v27, 6, v57
	v_mov_b32_e32 v49, v51
	v_mov_b32_e32 v50, v51
	v_readfirstlane_b32 s12, v6
	v_readfirstlane_b32 s13, v7
	v_pk_mov_b32 v[10:11], s[30:31], s[30:31] op_sel:[0,1]
	s_nop 3
	global_store_dwordx4 v27, v[48:51], s[12:13]
	global_store_dwordx4 v27, v[8:11], s[12:13] offset:16
	global_store_dwordx4 v27, v[8:11], s[12:13] offset:32
	;; [unrolled: 1-line block ×3, first 2 shown]
	s_and_saveexec_b64 s[12:13], s[4:5]
	s_cbranch_execz .LBB3_189
; %bb.182:                              ;   in Loop: Header=BB3_3 Depth=1
	global_load_dwordx2 v[12:13], v51, s[8:9] offset:32 glc
	global_load_dwordx2 v[2:3], v51, s[8:9] offset:40
	v_mov_b32_e32 v10, s10
	v_mov_b32_e32 v11, s11
	s_waitcnt vmcnt(0)
	v_and_b32_e32 v2, s10, v2
	v_and_b32_e32 v3, s11, v3
	v_mul_lo_u32 v3, v3, 24
	v_mul_hi_u32 v8, v2, 24
	v_mul_lo_u32 v2, v2, 24
	v_add_u32_e32 v3, v8, v3
	v_add_co_u32_e32 v8, vcc, v0, v2
	v_addc_co_u32_e32 v9, vcc, v1, v3, vcc
	global_store_dwordx2 v[8:9], v[12:13], off
	buffer_wbl2
	s_waitcnt vmcnt(0)
	global_atomic_cmpswap_x2 v[2:3], v51, v[10:13], s[8:9] offset:32 glc
	s_waitcnt vmcnt(0)
	v_cmp_ne_u64_e32 vcc, v[2:3], v[12:13]
	s_and_saveexec_b64 s[14:15], vcc
	s_cbranch_execz .LBB3_185
; %bb.183:                              ;   in Loop: Header=BB3_3 Depth=1
	s_mov_b64 s[16:17], 0
.LBB3_184:                              ;   Parent Loop BB3_3 Depth=1
                                        ; =>  This Inner Loop Header: Depth=2
	s_sleep 1
	global_store_dwordx2 v[8:9], v[2:3], off
	v_mov_b32_e32 v0, s10
	v_mov_b32_e32 v1, s11
	buffer_wbl2
	s_waitcnt vmcnt(0)
	global_atomic_cmpswap_x2 v[0:1], v51, v[0:3], s[8:9] offset:32 glc
	s_waitcnt vmcnt(0)
	v_cmp_eq_u64_e32 vcc, v[0:1], v[2:3]
	s_or_b64 s[16:17], vcc, s[16:17]
	v_pk_mov_b32 v[2:3], v[0:1], v[0:1] op_sel:[0,1]
	s_andn2_b64 exec, exec, s[16:17]
	s_cbranch_execnz .LBB3_184
.LBB3_185:                              ;   in Loop: Header=BB3_3 Depth=1
	s_or_b64 exec, exec, s[14:15]
	global_load_dwordx2 v[0:1], v51, s[8:9] offset:16
	s_mov_b64 s[16:17], exec
	v_mbcnt_lo_u32_b32 v2, s16, 0
	v_mbcnt_hi_u32_b32 v2, s17, v2
	v_cmp_eq_u32_e32 vcc, 0, v2
	s_and_saveexec_b64 s[14:15], vcc
	s_cbranch_execz .LBB3_187
; %bb.186:                              ;   in Loop: Header=BB3_3 Depth=1
	s_bcnt1_i32_b64 s16, s[16:17]
	v_mov_b32_e32 v50, s16
	buffer_wbl2
	s_waitcnt vmcnt(0)
	global_atomic_add_x2 v[0:1], v[50:51], off offset:8
.LBB3_187:                              ;   in Loop: Header=BB3_3 Depth=1
	s_or_b64 exec, exec, s[14:15]
	s_waitcnt vmcnt(0)
	global_load_dwordx2 v[2:3], v[0:1], off offset:16
	s_waitcnt vmcnt(0)
	v_cmp_eq_u64_e32 vcc, 0, v[2:3]
	s_cbranch_vccnz .LBB3_189
; %bb.188:                              ;   in Loop: Header=BB3_3 Depth=1
	global_load_dword v50, v[0:1], off offset:24
	s_waitcnt vmcnt(0)
	v_and_b32_e32 v0, 0xffffff, v50
	v_readfirstlane_b32 m0, v0
	buffer_wbl2
	global_store_dwordx2 v[2:3], v[50:51], off
	s_sendmsg sendmsg(MSG_INTERRUPT)
.LBB3_189:                              ;   in Loop: Header=BB3_3 Depth=1
	s_or_b64 exec, exec, s[12:13]
	v_add_co_u32_e32 v0, vcc, v6, v27
	v_addc_co_u32_e32 v1, vcc, 0, v7, vcc
	s_branch .LBB3_193
.LBB3_190:                              ;   in Loop: Header=BB3_193 Depth=2
	s_or_b64 exec, exec, s[12:13]
	v_readfirstlane_b32 s12, v2
	s_cmp_eq_u32 s12, 0
	s_cbranch_scc1 .LBB3_192
; %bb.191:                              ;   in Loop: Header=BB3_193 Depth=2
	s_sleep 1
	s_cbranch_execnz .LBB3_193
	s_branch .LBB3_308
.LBB3_192:                              ;   in Loop: Header=BB3_3 Depth=1
	s_branch .LBB3_308
.LBB3_193:                              ;   Parent Loop BB3_3 Depth=1
                                        ; =>  This Inner Loop Header: Depth=2
	v_mov_b32_e32 v2, 1
	s_and_saveexec_b64 s[12:13], s[4:5]
	s_cbranch_execz .LBB3_190
; %bb.194:                              ;   in Loop: Header=BB3_193 Depth=2
	global_load_dword v2, v[4:5], off offset:20 glc
	s_waitcnt vmcnt(0)
	buffer_invl2
	buffer_wbinvl1_vol
	v_and_b32_e32 v2, 1, v2
	s_branch .LBB3_190
.LBB3_195:                              ;   in Loop: Header=BB3_3 Depth=1
	s_or_b64 exec, exec, s[6:7]
                                        ; implicit-def: $vgpr26
.LBB3_196:                              ;   in Loop: Header=BB3_3 Depth=1
	s_andn2_saveexec_b64 s[6:7], s[20:21]
	s_cbranch_execz .LBB3_529
.LBB3_197:                              ;   in Loop: Header=BB3_3 Depth=1
	flat_load_dword v28, v[46:47]
	s_load_dwordx2 s[8:9], s[26:27], 0x50
	v_readfirstlane_b32 s4, v57
	v_cmp_eq_u32_e64 s[4:5], s4, v57
	v_pk_mov_b32 v[4:5], 0, 0
	s_and_saveexec_b64 s[10:11], s[4:5]
	s_cbranch_execz .LBB3_203
; %bb.198:                              ;   in Loop: Header=BB3_3 Depth=1
	s_waitcnt lgkmcnt(0)
	global_load_dwordx2 v[2:3], v51, s[8:9] offset:24 glc
	s_waitcnt vmcnt(0)
	buffer_invl2
	buffer_wbinvl1_vol
	global_load_dwordx2 v[0:1], v51, s[8:9] offset:40
	global_load_dwordx2 v[4:5], v51, s[8:9]
	s_waitcnt vmcnt(1)
	v_and_b32_e32 v0, v0, v2
	v_and_b32_e32 v1, v1, v3
	v_mul_lo_u32 v1, v1, 24
	v_mul_hi_u32 v6, v0, 24
	v_mul_lo_u32 v0, v0, 24
	v_add_u32_e32 v1, v6, v1
	s_waitcnt vmcnt(0)
	v_add_co_u32_e32 v0, vcc, v4, v0
	v_addc_co_u32_e32 v1, vcc, v5, v1, vcc
	global_load_dwordx2 v[0:1], v[0:1], off glc
	s_waitcnt vmcnt(0)
	global_atomic_cmpswap_x2 v[4:5], v51, v[0:3], s[8:9] offset:24 glc
	s_waitcnt vmcnt(0)
	buffer_invl2
	buffer_wbinvl1_vol
	v_cmp_ne_u64_e32 vcc, v[4:5], v[2:3]
	s_and_saveexec_b64 s[12:13], vcc
	s_cbranch_execz .LBB3_202
; %bb.199:                              ;   in Loop: Header=BB3_3 Depth=1
	s_mov_b64 s[14:15], 0
.LBB3_200:                              ;   Parent Loop BB3_3 Depth=1
                                        ; =>  This Inner Loop Header: Depth=2
	s_sleep 1
	global_load_dwordx2 v[0:1], v51, s[8:9] offset:40
	global_load_dwordx2 v[6:7], v51, s[8:9]
	v_pk_mov_b32 v[2:3], v[4:5], v[4:5] op_sel:[0,1]
	s_waitcnt vmcnt(1)
	v_and_b32_e32 v0, v0, v2
	v_and_b32_e32 v5, v1, v3
	s_waitcnt vmcnt(0)
	v_mad_u64_u32 v[0:1], s[16:17], v0, 24, v[6:7]
	v_mov_b32_e32 v4, v1
	v_mad_u64_u32 v[4:5], s[16:17], v5, 24, v[4:5]
	v_mov_b32_e32 v1, v4
	global_load_dwordx2 v[0:1], v[0:1], off glc
	s_waitcnt vmcnt(0)
	global_atomic_cmpswap_x2 v[4:5], v51, v[0:3], s[8:9] offset:24 glc
	s_waitcnt vmcnt(0)
	buffer_invl2
	buffer_wbinvl1_vol
	v_cmp_eq_u64_e32 vcc, v[4:5], v[2:3]
	s_or_b64 s[14:15], vcc, s[14:15]
	s_andn2_b64 exec, exec, s[14:15]
	s_cbranch_execnz .LBB3_200
; %bb.201:                              ;   in Loop: Header=BB3_3 Depth=1
	s_or_b64 exec, exec, s[14:15]
.LBB3_202:                              ;   in Loop: Header=BB3_3 Depth=1
	s_or_b64 exec, exec, s[12:13]
.LBB3_203:                              ;   in Loop: Header=BB3_3 Depth=1
	s_or_b64 exec, exec, s[10:11]
	s_waitcnt lgkmcnt(0)
	global_load_dwordx2 v[6:7], v51, s[8:9] offset:40
	global_load_dwordx4 v[0:3], v51, s[8:9]
	v_readfirstlane_b32 s10, v4
	v_readfirstlane_b32 s11, v5
	s_mov_b64 s[12:13], exec
	s_waitcnt vmcnt(0)
	v_readfirstlane_b32 s14, v6
	v_readfirstlane_b32 s15, v7
	s_and_b64 s[14:15], s[10:11], s[14:15]
	s_mul_i32 s16, s15, 24
	s_mul_hi_u32 s17, s14, 24
	s_mul_i32 s20, s14, 24
	s_add_i32 s16, s17, s16
	v_mov_b32_e32 v5, s16
	v_add_co_u32_e32 v4, vcc, s20, v0
	v_addc_co_u32_e32 v5, vcc, v1, v5, vcc
	s_and_saveexec_b64 s[16:17], s[4:5]
	s_cbranch_execz .LBB3_205
; %bb.204:                              ;   in Loop: Header=BB3_3 Depth=1
	v_pk_mov_b32 v[40:41], s[12:13], s[12:13] op_sel:[0,1]
	global_store_dwordx4 v[4:5], v[40:43], off offset:8
.LBB3_205:                              ;   in Loop: Header=BB3_3 Depth=1
	s_or_b64 exec, exec, s[16:17]
	s_lshl_b64 s[12:13], s[14:15], 12
	v_mov_b32_e32 v7, s13
	v_add_co_u32_e32 v6, vcc, s12, v2
	s_mov_b32 s29, s28
	v_addc_co_u32_e32 v7, vcc, v3, v7, vcc
	s_mov_b32 s30, s28
	s_mov_b32 s31, s28
	v_pk_mov_b32 v[8:9], s[28:29], s[28:29] op_sel:[0,1]
	v_lshlrev_b32_e32 v27, 6, v57
	v_mov_b32_e32 v49, v51
	v_mov_b32_e32 v50, v51
	v_readfirstlane_b32 s12, v6
	v_readfirstlane_b32 s13, v7
	v_pk_mov_b32 v[10:11], s[30:31], s[30:31] op_sel:[0,1]
	s_nop 3
	global_store_dwordx4 v27, v[48:51], s[12:13]
	global_store_dwordx4 v27, v[8:11], s[12:13] offset:16
	global_store_dwordx4 v27, v[8:11], s[12:13] offset:32
	;; [unrolled: 1-line block ×3, first 2 shown]
	s_and_saveexec_b64 s[12:13], s[4:5]
	s_cbranch_execz .LBB3_213
; %bb.206:                              ;   in Loop: Header=BB3_3 Depth=1
	global_load_dwordx2 v[12:13], v51, s[8:9] offset:32 glc
	global_load_dwordx2 v[2:3], v51, s[8:9] offset:40
	v_mov_b32_e32 v10, s10
	v_mov_b32_e32 v11, s11
	s_waitcnt vmcnt(0)
	v_and_b32_e32 v2, s10, v2
	v_and_b32_e32 v3, s11, v3
	v_mul_lo_u32 v3, v3, 24
	v_mul_hi_u32 v8, v2, 24
	v_mul_lo_u32 v2, v2, 24
	v_add_u32_e32 v3, v8, v3
	v_add_co_u32_e32 v8, vcc, v0, v2
	v_addc_co_u32_e32 v9, vcc, v1, v3, vcc
	global_store_dwordx2 v[8:9], v[12:13], off
	buffer_wbl2
	s_waitcnt vmcnt(0)
	global_atomic_cmpswap_x2 v[2:3], v51, v[10:13], s[8:9] offset:32 glc
	s_waitcnt vmcnt(0)
	v_cmp_ne_u64_e32 vcc, v[2:3], v[12:13]
	s_and_saveexec_b64 s[14:15], vcc
	s_cbranch_execz .LBB3_209
; %bb.207:                              ;   in Loop: Header=BB3_3 Depth=1
	s_mov_b64 s[16:17], 0
.LBB3_208:                              ;   Parent Loop BB3_3 Depth=1
                                        ; =>  This Inner Loop Header: Depth=2
	s_sleep 1
	global_store_dwordx2 v[8:9], v[2:3], off
	v_mov_b32_e32 v0, s10
	v_mov_b32_e32 v1, s11
	buffer_wbl2
	s_waitcnt vmcnt(0)
	global_atomic_cmpswap_x2 v[0:1], v51, v[0:3], s[8:9] offset:32 glc
	s_waitcnt vmcnt(0)
	v_cmp_eq_u64_e32 vcc, v[0:1], v[2:3]
	s_or_b64 s[16:17], vcc, s[16:17]
	v_pk_mov_b32 v[2:3], v[0:1], v[0:1] op_sel:[0,1]
	s_andn2_b64 exec, exec, s[16:17]
	s_cbranch_execnz .LBB3_208
.LBB3_209:                              ;   in Loop: Header=BB3_3 Depth=1
	s_or_b64 exec, exec, s[14:15]
	global_load_dwordx2 v[0:1], v51, s[8:9] offset:16
	s_mov_b64 s[16:17], exec
	v_mbcnt_lo_u32_b32 v2, s16, 0
	v_mbcnt_hi_u32_b32 v2, s17, v2
	v_cmp_eq_u32_e32 vcc, 0, v2
	s_and_saveexec_b64 s[14:15], vcc
	s_cbranch_execz .LBB3_211
; %bb.210:                              ;   in Loop: Header=BB3_3 Depth=1
	s_bcnt1_i32_b64 s16, s[16:17]
	v_mov_b32_e32 v50, s16
	buffer_wbl2
	s_waitcnt vmcnt(0)
	global_atomic_add_x2 v[0:1], v[50:51], off offset:8
.LBB3_211:                              ;   in Loop: Header=BB3_3 Depth=1
	s_or_b64 exec, exec, s[14:15]
	s_waitcnt vmcnt(0)
	global_load_dwordx2 v[2:3], v[0:1], off offset:16
	s_waitcnt vmcnt(0)
	v_cmp_eq_u64_e32 vcc, 0, v[2:3]
	s_cbranch_vccnz .LBB3_213
; %bb.212:                              ;   in Loop: Header=BB3_3 Depth=1
	global_load_dword v50, v[0:1], off offset:24
	s_waitcnt vmcnt(0)
	v_and_b32_e32 v0, 0xffffff, v50
	v_readfirstlane_b32 m0, v0
	buffer_wbl2
	global_store_dwordx2 v[2:3], v[50:51], off
	s_sendmsg sendmsg(MSG_INTERRUPT)
.LBB3_213:                              ;   in Loop: Header=BB3_3 Depth=1
	s_or_b64 exec, exec, s[12:13]
	v_add_co_u32_e32 v0, vcc, v6, v27
	v_addc_co_u32_e32 v1, vcc, 0, v7, vcc
	s_branch .LBB3_217
.LBB3_214:                              ;   in Loop: Header=BB3_217 Depth=2
	s_or_b64 exec, exec, s[12:13]
	v_readfirstlane_b32 s12, v2
	s_cmp_eq_u32 s12, 0
	s_cbranch_scc1 .LBB3_216
; %bb.215:                              ;   in Loop: Header=BB3_217 Depth=2
	s_sleep 1
	s_cbranch_execnz .LBB3_217
	s_branch .LBB3_219
.LBB3_216:                              ;   in Loop: Header=BB3_3 Depth=1
	s_branch .LBB3_219
.LBB3_217:                              ;   Parent Loop BB3_3 Depth=1
                                        ; =>  This Inner Loop Header: Depth=2
	v_mov_b32_e32 v2, 1
	s_and_saveexec_b64 s[12:13], s[4:5]
	s_cbranch_execz .LBB3_214
; %bb.218:                              ;   in Loop: Header=BB3_217 Depth=2
	global_load_dword v2, v[4:5], off offset:20 glc
	s_waitcnt vmcnt(0)
	buffer_invl2
	buffer_wbinvl1_vol
	v_and_b32_e32 v2, 1, v2
	s_branch .LBB3_214
.LBB3_219:                              ;   in Loop: Header=BB3_3 Depth=1
	global_load_dwordx2 v[0:1], v[0:1], off
	s_and_saveexec_b64 s[12:13], s[4:5]
	s_cbranch_execz .LBB3_223
; %bb.220:                              ;   in Loop: Header=BB3_3 Depth=1
	global_load_dwordx2 v[6:7], v51, s[8:9] offset:40
	global_load_dwordx2 v[8:9], v51, s[8:9] offset:24 glc
	global_load_dwordx2 v[10:11], v51, s[8:9]
	v_mov_b32_e32 v3, s11
	s_waitcnt vmcnt(2)
	v_add_co_u32_e32 v5, vcc, 1, v6
	v_addc_co_u32_e32 v12, vcc, 0, v7, vcc
	v_add_co_u32_e32 v2, vcc, s10, v5
	v_addc_co_u32_e32 v3, vcc, v12, v3, vcc
	v_cmp_eq_u64_e32 vcc, 0, v[2:3]
	v_cndmask_b32_e32 v3, v3, v12, vcc
	v_cndmask_b32_e32 v2, v2, v5, vcc
	v_and_b32_e32 v5, v3, v7
	v_and_b32_e32 v6, v2, v6
	v_mul_lo_u32 v5, v5, 24
	v_mul_hi_u32 v7, v6, 24
	v_mul_lo_u32 v6, v6, 24
	v_add_u32_e32 v5, v7, v5
	s_waitcnt vmcnt(0)
	v_add_co_u32_e32 v6, vcc, v10, v6
	v_addc_co_u32_e32 v7, vcc, v11, v5, vcc
	v_mov_b32_e32 v4, v8
	global_store_dwordx2 v[6:7], v[8:9], off
	v_mov_b32_e32 v5, v9
	buffer_wbl2
	s_waitcnt vmcnt(0)
	global_atomic_cmpswap_x2 v[4:5], v51, v[2:5], s[8:9] offset:24 glc
	s_waitcnt vmcnt(0)
	v_cmp_ne_u64_e32 vcc, v[4:5], v[8:9]
	s_and_b64 exec, exec, vcc
	s_cbranch_execz .LBB3_223
; %bb.221:                              ;   in Loop: Header=BB3_3 Depth=1
	s_mov_b64 s[4:5], 0
.LBB3_222:                              ;   Parent Loop BB3_3 Depth=1
                                        ; =>  This Inner Loop Header: Depth=2
	s_sleep 1
	global_store_dwordx2 v[6:7], v[4:5], off
	buffer_wbl2
	s_waitcnt vmcnt(0)
	global_atomic_cmpswap_x2 v[8:9], v51, v[2:5], s[8:9] offset:24 glc
	s_waitcnt vmcnt(0)
	v_cmp_eq_u64_e32 vcc, v[8:9], v[4:5]
	s_or_b64 s[4:5], vcc, s[4:5]
	v_pk_mov_b32 v[4:5], v[8:9], v[8:9] op_sel:[0,1]
	s_andn2_b64 exec, exec, s[4:5]
	s_cbranch_execnz .LBB3_222
.LBB3_223:                              ;   in Loop: Header=BB3_3 Depth=1
	s_or_b64 exec, exec, s[12:13]
	s_and_b64 vcc, exec, s[42:43]
	s_cbranch_vccz .LBB3_396
; %bb.224:                              ;   in Loop: Header=BB3_3 Depth=1
	s_waitcnt vmcnt(0)
	v_and_b32_e32 v22, 2, v0
	v_and_b32_e32 v2, -3, v0
	v_mov_b32_e32 v3, v1
	s_mov_b64 s[12:13], 44
	s_getpc_b64 s[10:11]
	s_add_u32 s10, s10, .str.3@rel32@lo+4
	s_addc_u32 s11, s11, .str.3@rel32@hi+12
	s_branch .LBB3_226
.LBB3_225:                              ;   in Loop: Header=BB3_226 Depth=2
	s_or_b64 exec, exec, s[20:21]
	s_sub_u32 s12, s12, s14
	s_subb_u32 s13, s13, s15
	s_add_u32 s10, s10, s14
	s_addc_u32 s11, s11, s15
	s_cmp_lg_u64 s[12:13], 0
	s_cbranch_scc0 .LBB3_307
.LBB3_226:                              ;   Parent Loop BB3_3 Depth=1
                                        ; =>  This Loop Header: Depth=2
                                        ;       Child Loop BB3_229 Depth 3
                                        ;       Child Loop BB3_236 Depth 3
	;; [unrolled: 1-line block ×11, first 2 shown]
	v_cmp_lt_u64_e64 s[4:5], s[12:13], 56
	s_and_b64 s[4:5], s[4:5], exec
	v_cmp_gt_u64_e64 s[4:5], s[12:13], 7
	s_cselect_b32 s15, s13, 0
	s_cselect_b32 s14, s12, 56
	s_and_b64 vcc, exec, s[4:5]
	s_cbranch_vccnz .LBB3_231
; %bb.227:                              ;   in Loop: Header=BB3_226 Depth=2
	s_mov_b64 s[4:5], 0
	s_cmp_eq_u64 s[12:13], 0
	s_waitcnt vmcnt(0)
	v_pk_mov_b32 v[4:5], 0, 0
	s_cbranch_scc1 .LBB3_230
; %bb.228:                              ;   in Loop: Header=BB3_226 Depth=2
	s_lshl_b64 s[16:17], s[14:15], 3
	s_mov_b64 s[20:21], 0
	v_pk_mov_b32 v[4:5], 0, 0
	s_mov_b64 s[22:23], s[10:11]
.LBB3_229:                              ;   Parent Loop BB3_3 Depth=1
                                        ;     Parent Loop BB3_226 Depth=2
                                        ; =>    This Inner Loop Header: Depth=3
	global_load_ubyte v6, v51, s[22:23]
	s_waitcnt vmcnt(0)
	v_and_b32_e32 v50, 0xffff, v6
	v_lshlrev_b64 v[6:7], s20, v[50:51]
	s_add_u32 s20, s20, 8
	s_addc_u32 s21, s21, 0
	s_add_u32 s22, s22, 1
	s_addc_u32 s23, s23, 0
	v_or_b32_e32 v4, v6, v4
	s_cmp_lg_u32 s16, s20
	v_or_b32_e32 v5, v7, v5
	s_cbranch_scc1 .LBB3_229
.LBB3_230:                              ;   in Loop: Header=BB3_226 Depth=2
	s_mov_b32 s22, 0
	s_andn2_b64 vcc, exec, s[4:5]
	s_mov_b64 s[4:5], s[10:11]
	s_cbranch_vccz .LBB3_232
	s_branch .LBB3_233
.LBB3_231:                              ;   in Loop: Header=BB3_226 Depth=2
                                        ; implicit-def: $vgpr4_vgpr5
                                        ; implicit-def: $sgpr22
	s_mov_b64 s[4:5], s[10:11]
.LBB3_232:                              ;   in Loop: Header=BB3_226 Depth=2
	global_load_dwordx2 v[4:5], v51, s[10:11]
	s_add_i32 s22, s14, -8
	s_add_u32 s4, s10, 8
	s_addc_u32 s5, s11, 0
.LBB3_233:                              ;   in Loop: Header=BB3_226 Depth=2
	s_cmp_gt_u32 s22, 7
	s_cbranch_scc1 .LBB3_237
; %bb.234:                              ;   in Loop: Header=BB3_226 Depth=2
	s_cmp_eq_u32 s22, 0
	s_cbranch_scc1 .LBB3_238
; %bb.235:                              ;   in Loop: Header=BB3_226 Depth=2
	s_mov_b64 s[16:17], 0
	v_pk_mov_b32 v[6:7], 0, 0
	s_mov_b64 s[20:21], 0
.LBB3_236:                              ;   Parent Loop BB3_3 Depth=1
                                        ;     Parent Loop BB3_226 Depth=2
                                        ; =>    This Inner Loop Header: Depth=3
	s_add_u32 s24, s4, s20
	s_addc_u32 s25, s5, s21
	global_load_ubyte v8, v51, s[24:25]
	s_add_u32 s20, s20, 1
	s_addc_u32 s21, s21, 0
	s_waitcnt vmcnt(0)
	v_and_b32_e32 v50, 0xffff, v8
	v_lshlrev_b64 v[8:9], s16, v[50:51]
	s_add_u32 s16, s16, 8
	s_addc_u32 s17, s17, 0
	v_or_b32_e32 v6, v8, v6
	s_cmp_lg_u32 s22, s20
	v_or_b32_e32 v7, v9, v7
	s_cbranch_scc1 .LBB3_236
	s_branch .LBB3_239
.LBB3_237:                              ;   in Loop: Header=BB3_226 Depth=2
                                        ; implicit-def: $vgpr6_vgpr7
                                        ; implicit-def: $sgpr23
	s_branch .LBB3_240
.LBB3_238:                              ;   in Loop: Header=BB3_226 Depth=2
	v_pk_mov_b32 v[6:7], 0, 0
.LBB3_239:                              ;   in Loop: Header=BB3_226 Depth=2
	s_mov_b32 s23, 0
	s_cbranch_execnz .LBB3_241
.LBB3_240:                              ;   in Loop: Header=BB3_226 Depth=2
	global_load_dwordx2 v[6:7], v51, s[4:5]
	s_add_i32 s23, s22, -8
	s_add_u32 s4, s4, 8
	s_addc_u32 s5, s5, 0
.LBB3_241:                              ;   in Loop: Header=BB3_226 Depth=2
	s_cmp_gt_u32 s23, 7
	s_cbranch_scc1 .LBB3_245
; %bb.242:                              ;   in Loop: Header=BB3_226 Depth=2
	s_cmp_eq_u32 s23, 0
	s_cbranch_scc1 .LBB3_246
; %bb.243:                              ;   in Loop: Header=BB3_226 Depth=2
	s_mov_b64 s[16:17], 0
	v_pk_mov_b32 v[8:9], 0, 0
	s_mov_b64 s[20:21], 0
.LBB3_244:                              ;   Parent Loop BB3_3 Depth=1
                                        ;     Parent Loop BB3_226 Depth=2
                                        ; =>    This Inner Loop Header: Depth=3
	s_add_u32 s24, s4, s20
	s_addc_u32 s25, s5, s21
	global_load_ubyte v10, v51, s[24:25]
	s_add_u32 s20, s20, 1
	s_addc_u32 s21, s21, 0
	s_waitcnt vmcnt(0)
	v_and_b32_e32 v50, 0xffff, v10
	v_lshlrev_b64 v[10:11], s16, v[50:51]
	s_add_u32 s16, s16, 8
	s_addc_u32 s17, s17, 0
	v_or_b32_e32 v8, v10, v8
	s_cmp_lg_u32 s23, s20
	v_or_b32_e32 v9, v11, v9
	s_cbranch_scc1 .LBB3_244
	s_branch .LBB3_247
.LBB3_245:                              ;   in Loop: Header=BB3_226 Depth=2
                                        ; implicit-def: $sgpr22
	s_branch .LBB3_248
.LBB3_246:                              ;   in Loop: Header=BB3_226 Depth=2
	v_pk_mov_b32 v[8:9], 0, 0
.LBB3_247:                              ;   in Loop: Header=BB3_226 Depth=2
	s_mov_b32 s22, 0
	s_cbranch_execnz .LBB3_249
.LBB3_248:                              ;   in Loop: Header=BB3_226 Depth=2
	global_load_dwordx2 v[8:9], v51, s[4:5]
	s_add_i32 s22, s23, -8
	s_add_u32 s4, s4, 8
	s_addc_u32 s5, s5, 0
.LBB3_249:                              ;   in Loop: Header=BB3_226 Depth=2
	s_cmp_gt_u32 s22, 7
	s_cbranch_scc1 .LBB3_253
; %bb.250:                              ;   in Loop: Header=BB3_226 Depth=2
	s_cmp_eq_u32 s22, 0
	s_cbranch_scc1 .LBB3_254
; %bb.251:                              ;   in Loop: Header=BB3_226 Depth=2
	s_mov_b64 s[16:17], 0
	v_pk_mov_b32 v[10:11], 0, 0
	s_mov_b64 s[20:21], 0
.LBB3_252:                              ;   Parent Loop BB3_3 Depth=1
                                        ;     Parent Loop BB3_226 Depth=2
                                        ; =>    This Inner Loop Header: Depth=3
	s_add_u32 s24, s4, s20
	s_addc_u32 s25, s5, s21
	global_load_ubyte v12, v51, s[24:25]
	s_add_u32 s20, s20, 1
	s_addc_u32 s21, s21, 0
	s_waitcnt vmcnt(0)
	v_and_b32_e32 v50, 0xffff, v12
	v_lshlrev_b64 v[12:13], s16, v[50:51]
	s_add_u32 s16, s16, 8
	s_addc_u32 s17, s17, 0
	v_or_b32_e32 v10, v12, v10
	s_cmp_lg_u32 s22, s20
	v_or_b32_e32 v11, v13, v11
	s_cbranch_scc1 .LBB3_252
	s_branch .LBB3_255
.LBB3_253:                              ;   in Loop: Header=BB3_226 Depth=2
                                        ; implicit-def: $vgpr10_vgpr11
                                        ; implicit-def: $sgpr23
	s_branch .LBB3_256
.LBB3_254:                              ;   in Loop: Header=BB3_226 Depth=2
	v_pk_mov_b32 v[10:11], 0, 0
.LBB3_255:                              ;   in Loop: Header=BB3_226 Depth=2
	s_mov_b32 s23, 0
	s_cbranch_execnz .LBB3_257
.LBB3_256:                              ;   in Loop: Header=BB3_226 Depth=2
	global_load_dwordx2 v[10:11], v51, s[4:5]
	s_add_i32 s23, s22, -8
	s_add_u32 s4, s4, 8
	s_addc_u32 s5, s5, 0
.LBB3_257:                              ;   in Loop: Header=BB3_226 Depth=2
	s_cmp_gt_u32 s23, 7
	s_cbranch_scc1 .LBB3_261
; %bb.258:                              ;   in Loop: Header=BB3_226 Depth=2
	s_cmp_eq_u32 s23, 0
	s_cbranch_scc1 .LBB3_262
; %bb.259:                              ;   in Loop: Header=BB3_226 Depth=2
	s_mov_b64 s[16:17], 0
	v_pk_mov_b32 v[12:13], 0, 0
	s_mov_b64 s[20:21], 0
.LBB3_260:                              ;   Parent Loop BB3_3 Depth=1
                                        ;     Parent Loop BB3_226 Depth=2
                                        ; =>    This Inner Loop Header: Depth=3
	s_add_u32 s24, s4, s20
	s_addc_u32 s25, s5, s21
	global_load_ubyte v14, v51, s[24:25]
	s_add_u32 s20, s20, 1
	s_addc_u32 s21, s21, 0
	s_waitcnt vmcnt(0)
	v_and_b32_e32 v50, 0xffff, v14
	v_lshlrev_b64 v[14:15], s16, v[50:51]
	s_add_u32 s16, s16, 8
	s_addc_u32 s17, s17, 0
	v_or_b32_e32 v12, v14, v12
	s_cmp_lg_u32 s23, s20
	v_or_b32_e32 v13, v15, v13
	s_cbranch_scc1 .LBB3_260
	s_branch .LBB3_263
.LBB3_261:                              ;   in Loop: Header=BB3_226 Depth=2
                                        ; implicit-def: $sgpr22
	s_branch .LBB3_264
.LBB3_262:                              ;   in Loop: Header=BB3_226 Depth=2
	v_pk_mov_b32 v[12:13], 0, 0
.LBB3_263:                              ;   in Loop: Header=BB3_226 Depth=2
	s_mov_b32 s22, 0
	s_cbranch_execnz .LBB3_265
.LBB3_264:                              ;   in Loop: Header=BB3_226 Depth=2
	global_load_dwordx2 v[12:13], v51, s[4:5]
	s_add_i32 s22, s23, -8
	s_add_u32 s4, s4, 8
	s_addc_u32 s5, s5, 0
.LBB3_265:                              ;   in Loop: Header=BB3_226 Depth=2
	s_cmp_gt_u32 s22, 7
	s_cbranch_scc1 .LBB3_269
; %bb.266:                              ;   in Loop: Header=BB3_226 Depth=2
	s_cmp_eq_u32 s22, 0
	s_cbranch_scc1 .LBB3_270
; %bb.267:                              ;   in Loop: Header=BB3_226 Depth=2
	s_mov_b64 s[16:17], 0
	v_pk_mov_b32 v[14:15], 0, 0
	s_mov_b64 s[20:21], 0
.LBB3_268:                              ;   Parent Loop BB3_3 Depth=1
                                        ;     Parent Loop BB3_226 Depth=2
                                        ; =>    This Inner Loop Header: Depth=3
	s_add_u32 s24, s4, s20
	s_addc_u32 s25, s5, s21
	global_load_ubyte v16, v51, s[24:25]
	s_add_u32 s20, s20, 1
	s_addc_u32 s21, s21, 0
	s_waitcnt vmcnt(0)
	v_and_b32_e32 v50, 0xffff, v16
	v_lshlrev_b64 v[16:17], s16, v[50:51]
	s_add_u32 s16, s16, 8
	s_addc_u32 s17, s17, 0
	v_or_b32_e32 v14, v16, v14
	s_cmp_lg_u32 s22, s20
	v_or_b32_e32 v15, v17, v15
	s_cbranch_scc1 .LBB3_268
	s_branch .LBB3_271
.LBB3_269:                              ;   in Loop: Header=BB3_226 Depth=2
                                        ; implicit-def: $vgpr14_vgpr15
                                        ; implicit-def: $sgpr23
	s_branch .LBB3_272
.LBB3_270:                              ;   in Loop: Header=BB3_226 Depth=2
	v_pk_mov_b32 v[14:15], 0, 0
.LBB3_271:                              ;   in Loop: Header=BB3_226 Depth=2
	s_mov_b32 s23, 0
	s_cbranch_execnz .LBB3_273
.LBB3_272:                              ;   in Loop: Header=BB3_226 Depth=2
	global_load_dwordx2 v[14:15], v51, s[4:5]
	s_add_i32 s23, s22, -8
	s_add_u32 s4, s4, 8
	s_addc_u32 s5, s5, 0
.LBB3_273:                              ;   in Loop: Header=BB3_226 Depth=2
	s_cmp_gt_u32 s23, 7
	s_cbranch_scc1 .LBB3_277
; %bb.274:                              ;   in Loop: Header=BB3_226 Depth=2
	s_cmp_eq_u32 s23, 0
	s_cbranch_scc1 .LBB3_278
; %bb.275:                              ;   in Loop: Header=BB3_226 Depth=2
	s_mov_b64 s[16:17], 0
	v_pk_mov_b32 v[16:17], 0, 0
	s_mov_b64 s[20:21], s[4:5]
.LBB3_276:                              ;   Parent Loop BB3_3 Depth=1
                                        ;     Parent Loop BB3_226 Depth=2
                                        ; =>    This Inner Loop Header: Depth=3
	global_load_ubyte v18, v51, s[20:21]
	s_add_i32 s23, s23, -1
	s_waitcnt vmcnt(0)
	v_and_b32_e32 v50, 0xffff, v18
	v_lshlrev_b64 v[18:19], s16, v[50:51]
	s_add_u32 s16, s16, 8
	s_addc_u32 s17, s17, 0
	s_add_u32 s20, s20, 1
	s_addc_u32 s21, s21, 0
	v_or_b32_e32 v16, v18, v16
	s_cmp_lg_u32 s23, 0
	v_or_b32_e32 v17, v19, v17
	s_cbranch_scc1 .LBB3_276
	s_branch .LBB3_279
.LBB3_277:                              ;   in Loop: Header=BB3_226 Depth=2
	s_branch .LBB3_280
.LBB3_278:                              ;   in Loop: Header=BB3_226 Depth=2
	v_pk_mov_b32 v[16:17], 0, 0
.LBB3_279:                              ;   in Loop: Header=BB3_226 Depth=2
	s_cbranch_execnz .LBB3_281
.LBB3_280:                              ;   in Loop: Header=BB3_226 Depth=2
	global_load_dwordx2 v[16:17], v51, s[4:5]
.LBB3_281:                              ;   in Loop: Header=BB3_226 Depth=2
	v_readfirstlane_b32 s4, v57
	v_cmp_eq_u32_e64 s[4:5], s4, v57
	v_pk_mov_b32 v[24:25], 0, 0
	s_and_saveexec_b64 s[16:17], s[4:5]
	s_cbranch_execz .LBB3_287
; %bb.282:                              ;   in Loop: Header=BB3_226 Depth=2
	global_load_dwordx2 v[20:21], v51, s[8:9] offset:24 glc
	s_waitcnt vmcnt(0)
	buffer_invl2
	buffer_wbinvl1_vol
	global_load_dwordx2 v[18:19], v51, s[8:9] offset:40
	global_load_dwordx2 v[24:25], v51, s[8:9]
	s_waitcnt vmcnt(1)
	v_and_b32_e32 v18, v18, v20
	v_and_b32_e32 v19, v19, v21
	v_mul_lo_u32 v19, v19, 24
	v_mul_hi_u32 v29, v18, 24
	v_mul_lo_u32 v18, v18, 24
	v_add_u32_e32 v19, v29, v19
	s_waitcnt vmcnt(0)
	v_add_co_u32_e32 v18, vcc, v24, v18
	v_addc_co_u32_e32 v19, vcc, v25, v19, vcc
	global_load_dwordx2 v[18:19], v[18:19], off glc
	s_waitcnt vmcnt(0)
	global_atomic_cmpswap_x2 v[24:25], v51, v[18:21], s[8:9] offset:24 glc
	s_waitcnt vmcnt(0)
	buffer_invl2
	buffer_wbinvl1_vol
	v_cmp_ne_u64_e32 vcc, v[24:25], v[20:21]
	s_and_saveexec_b64 s[20:21], vcc
	s_cbranch_execz .LBB3_286
; %bb.283:                              ;   in Loop: Header=BB3_226 Depth=2
	s_mov_b64 s[22:23], 0
.LBB3_284:                              ;   Parent Loop BB3_3 Depth=1
                                        ;     Parent Loop BB3_226 Depth=2
                                        ; =>    This Inner Loop Header: Depth=3
	s_sleep 1
	global_load_dwordx2 v[18:19], v51, s[8:9] offset:40
	global_load_dwordx2 v[30:31], v51, s[8:9]
	v_pk_mov_b32 v[20:21], v[24:25], v[24:25] op_sel:[0,1]
	s_waitcnt vmcnt(1)
	v_and_b32_e32 v18, v18, v20
	v_and_b32_e32 v25, v19, v21
	s_waitcnt vmcnt(0)
	v_mad_u64_u32 v[18:19], s[24:25], v18, 24, v[30:31]
	v_mov_b32_e32 v24, v19
	v_mad_u64_u32 v[24:25], s[24:25], v25, 24, v[24:25]
	v_mov_b32_e32 v19, v24
	global_load_dwordx2 v[18:19], v[18:19], off glc
	s_waitcnt vmcnt(0)
	global_atomic_cmpswap_x2 v[24:25], v51, v[18:21], s[8:9] offset:24 glc
	s_waitcnt vmcnt(0)
	buffer_invl2
	buffer_wbinvl1_vol
	v_cmp_eq_u64_e32 vcc, v[24:25], v[20:21]
	s_or_b64 s[22:23], vcc, s[22:23]
	s_andn2_b64 exec, exec, s[22:23]
	s_cbranch_execnz .LBB3_284
; %bb.285:                              ;   in Loop: Header=BB3_226 Depth=2
	s_or_b64 exec, exec, s[22:23]
.LBB3_286:                              ;   in Loop: Header=BB3_226 Depth=2
	s_or_b64 exec, exec, s[20:21]
.LBB3_287:                              ;   in Loop: Header=BB3_226 Depth=2
	s_or_b64 exec, exec, s[16:17]
	global_load_dwordx2 v[30:31], v51, s[8:9] offset:40
	global_load_dwordx4 v[18:21], v51, s[8:9]
	v_readfirstlane_b32 s16, v24
	v_readfirstlane_b32 s17, v25
	s_mov_b64 s[20:21], exec
	s_waitcnt vmcnt(1)
	v_readfirstlane_b32 s22, v30
	v_readfirstlane_b32 s23, v31
	s_and_b64 s[22:23], s[16:17], s[22:23]
	s_mul_i32 s24, s23, 24
	s_mul_hi_u32 s25, s22, 24
	s_mul_i32 s29, s22, 24
	s_add_i32 s24, s25, s24
	v_mov_b32_e32 v25, s24
	s_waitcnt vmcnt(0)
	v_add_co_u32_e32 v24, vcc, s29, v18
	v_addc_co_u32_e32 v25, vcc, v19, v25, vcc
	s_and_saveexec_b64 s[24:25], s[4:5]
	s_cbranch_execz .LBB3_289
; %bb.288:                              ;   in Loop: Header=BB3_226 Depth=2
	v_pk_mov_b32 v[40:41], s[20:21], s[20:21] op_sel:[0,1]
	global_store_dwordx4 v[24:25], v[40:43], off offset:8
.LBB3_289:                              ;   in Loop: Header=BB3_226 Depth=2
	s_or_b64 exec, exec, s[24:25]
	s_lshl_b64 s[20:21], s[22:23], 12
	v_mov_b32_e32 v29, s21
	v_add_co_u32_e32 v20, vcc, s20, v20
	v_addc_co_u32_e32 v21, vcc, v21, v29, vcc
	v_or_b32_e32 v30, v2, v22
	v_cmp_gt_u64_e64 vcc, s[12:13], 56
	s_lshl_b32 s20, s14, 2
	v_cndmask_b32_e32 v2, v30, v2, vcc
	s_add_i32 s20, s20, 28
	v_or_b32_e32 v29, 0, v3
	s_and_b32 s20, s20, 0x1e0
	v_and_b32_e32 v2, 0xffffff1f, v2
	v_cndmask_b32_e32 v3, v29, v3, vcc
	v_or_b32_e32 v2, s20, v2
	v_readfirstlane_b32 s20, v20
	v_readfirstlane_b32 s21, v21
	s_nop 4
	global_store_dwordx4 v27, v[2:5], s[20:21]
	global_store_dwordx4 v27, v[6:9], s[20:21] offset:16
	global_store_dwordx4 v27, v[10:13], s[20:21] offset:32
	;; [unrolled: 1-line block ×3, first 2 shown]
	s_and_saveexec_b64 s[20:21], s[4:5]
	s_cbranch_execz .LBB3_297
; %bb.290:                              ;   in Loop: Header=BB3_226 Depth=2
	global_load_dwordx2 v[10:11], v51, s[8:9] offset:32 glc
	global_load_dwordx2 v[2:3], v51, s[8:9] offset:40
	v_mov_b32_e32 v8, s16
	v_mov_b32_e32 v9, s17
	s_waitcnt vmcnt(0)
	v_readfirstlane_b32 s22, v2
	v_readfirstlane_b32 s23, v3
	s_and_b64 s[22:23], s[22:23], s[16:17]
	s_mul_i32 s23, s23, 24
	s_mul_hi_u32 s24, s22, 24
	s_mul_i32 s22, s22, 24
	s_add_i32 s23, s24, s23
	v_mov_b32_e32 v2, s23
	v_add_co_u32_e32 v6, vcc, s22, v18
	v_addc_co_u32_e32 v7, vcc, v19, v2, vcc
	global_store_dwordx2 v[6:7], v[10:11], off
	buffer_wbl2
	s_waitcnt vmcnt(0)
	global_atomic_cmpswap_x2 v[4:5], v51, v[8:11], s[8:9] offset:32 glc
	s_waitcnt vmcnt(0)
	v_cmp_ne_u64_e32 vcc, v[4:5], v[10:11]
	s_and_saveexec_b64 s[22:23], vcc
	s_cbranch_execz .LBB3_293
; %bb.291:                              ;   in Loop: Header=BB3_226 Depth=2
	s_mov_b64 s[24:25], 0
.LBB3_292:                              ;   Parent Loop BB3_3 Depth=1
                                        ;     Parent Loop BB3_226 Depth=2
                                        ; =>    This Inner Loop Header: Depth=3
	s_sleep 1
	global_store_dwordx2 v[6:7], v[4:5], off
	v_mov_b32_e32 v2, s16
	v_mov_b32_e32 v3, s17
	buffer_wbl2
	s_waitcnt vmcnt(0)
	global_atomic_cmpswap_x2 v[2:3], v51, v[2:5], s[8:9] offset:32 glc
	s_waitcnt vmcnt(0)
	v_cmp_eq_u64_e32 vcc, v[2:3], v[4:5]
	s_or_b64 s[24:25], vcc, s[24:25]
	v_pk_mov_b32 v[4:5], v[2:3], v[2:3] op_sel:[0,1]
	s_andn2_b64 exec, exec, s[24:25]
	s_cbranch_execnz .LBB3_292
.LBB3_293:                              ;   in Loop: Header=BB3_226 Depth=2
	s_or_b64 exec, exec, s[22:23]
	global_load_dwordx2 v[2:3], v51, s[8:9] offset:16
	s_mov_b64 s[24:25], exec
	v_mbcnt_lo_u32_b32 v4, s24, 0
	v_mbcnt_hi_u32_b32 v4, s25, v4
	v_cmp_eq_u32_e32 vcc, 0, v4
	s_and_saveexec_b64 s[22:23], vcc
	s_cbranch_execz .LBB3_295
; %bb.294:                              ;   in Loop: Header=BB3_226 Depth=2
	s_bcnt1_i32_b64 s24, s[24:25]
	v_mov_b32_e32 v50, s24
	buffer_wbl2
	s_waitcnt vmcnt(0)
	global_atomic_add_x2 v[2:3], v[50:51], off offset:8
.LBB3_295:                              ;   in Loop: Header=BB3_226 Depth=2
	s_or_b64 exec, exec, s[22:23]
	s_waitcnt vmcnt(0)
	global_load_dwordx2 v[4:5], v[2:3], off offset:16
	s_waitcnt vmcnt(0)
	v_cmp_eq_u64_e32 vcc, 0, v[4:5]
	s_cbranch_vccnz .LBB3_297
; %bb.296:                              ;   in Loop: Header=BB3_226 Depth=2
	global_load_dword v50, v[2:3], off offset:24
	s_waitcnt vmcnt(0)
	v_and_b32_e32 v2, 0xffffff, v50
	v_readfirstlane_b32 m0, v2
	buffer_wbl2
	global_store_dwordx2 v[4:5], v[50:51], off
	s_sendmsg sendmsg(MSG_INTERRUPT)
.LBB3_297:                              ;   in Loop: Header=BB3_226 Depth=2
	s_or_b64 exec, exec, s[20:21]
	v_add_co_u32_e32 v2, vcc, v20, v27
	v_addc_co_u32_e32 v3, vcc, 0, v21, vcc
	s_branch .LBB3_301
.LBB3_298:                              ;   in Loop: Header=BB3_301 Depth=3
	s_or_b64 exec, exec, s[20:21]
	v_readfirstlane_b32 s20, v4
	s_cmp_eq_u32 s20, 0
	s_cbranch_scc1 .LBB3_300
; %bb.299:                              ;   in Loop: Header=BB3_301 Depth=3
	s_sleep 1
	s_cbranch_execnz .LBB3_301
	s_branch .LBB3_303
.LBB3_300:                              ;   in Loop: Header=BB3_226 Depth=2
	s_branch .LBB3_303
.LBB3_301:                              ;   Parent Loop BB3_3 Depth=1
                                        ;     Parent Loop BB3_226 Depth=2
                                        ; =>    This Inner Loop Header: Depth=3
	v_mov_b32_e32 v4, 1
	s_and_saveexec_b64 s[20:21], s[4:5]
	s_cbranch_execz .LBB3_298
; %bb.302:                              ;   in Loop: Header=BB3_301 Depth=3
	global_load_dword v4, v[24:25], off offset:20 glc
	s_waitcnt vmcnt(0)
	buffer_invl2
	buffer_wbinvl1_vol
	v_and_b32_e32 v4, 1, v4
	s_branch .LBB3_298
.LBB3_303:                              ;   in Loop: Header=BB3_226 Depth=2
	global_load_dwordx4 v[2:5], v[2:3], off
	s_and_saveexec_b64 s[20:21], s[4:5]
	s_cbranch_execz .LBB3_225
; %bb.304:                              ;   in Loop: Header=BB3_226 Depth=2
	global_load_dwordx2 v[8:9], v51, s[8:9] offset:40
	global_load_dwordx2 v[10:11], v51, s[8:9] offset:24 glc
	global_load_dwordx2 v[12:13], v51, s[8:9]
	s_waitcnt vmcnt(3)
	v_mov_b32_e32 v5, s17
	s_waitcnt vmcnt(2)
	v_add_co_u32_e32 v7, vcc, 1, v8
	v_addc_co_u32_e32 v14, vcc, 0, v9, vcc
	v_add_co_u32_e32 v4, vcc, s16, v7
	v_addc_co_u32_e32 v5, vcc, v14, v5, vcc
	v_cmp_eq_u64_e32 vcc, 0, v[4:5]
	v_cndmask_b32_e32 v5, v5, v14, vcc
	v_cndmask_b32_e32 v4, v4, v7, vcc
	v_and_b32_e32 v7, v5, v9
	v_and_b32_e32 v8, v4, v8
	v_mul_lo_u32 v7, v7, 24
	v_mul_hi_u32 v9, v8, 24
	v_mul_lo_u32 v8, v8, 24
	v_add_u32_e32 v7, v9, v7
	s_waitcnt vmcnt(0)
	v_add_co_u32_e32 v8, vcc, v12, v8
	v_addc_co_u32_e32 v9, vcc, v13, v7, vcc
	v_mov_b32_e32 v6, v10
	global_store_dwordx2 v[8:9], v[10:11], off
	v_mov_b32_e32 v7, v11
	buffer_wbl2
	s_waitcnt vmcnt(0)
	global_atomic_cmpswap_x2 v[6:7], v51, v[4:7], s[8:9] offset:24 glc
	s_waitcnt vmcnt(0)
	v_cmp_ne_u64_e32 vcc, v[6:7], v[10:11]
	s_and_b64 exec, exec, vcc
	s_cbranch_execz .LBB3_225
; %bb.305:                              ;   in Loop: Header=BB3_226 Depth=2
	s_mov_b64 s[4:5], 0
.LBB3_306:                              ;   Parent Loop BB3_3 Depth=1
                                        ;     Parent Loop BB3_226 Depth=2
                                        ; =>    This Inner Loop Header: Depth=3
	s_sleep 1
	global_store_dwordx2 v[8:9], v[6:7], off
	buffer_wbl2
	s_waitcnt vmcnt(0)
	global_atomic_cmpswap_x2 v[10:11], v51, v[4:7], s[8:9] offset:24 glc
	s_waitcnt vmcnt(0)
	v_cmp_eq_u64_e32 vcc, v[10:11], v[6:7]
	s_or_b64 s[4:5], vcc, s[4:5]
	v_pk_mov_b32 v[6:7], v[10:11], v[10:11] op_sel:[0,1]
	s_andn2_b64 exec, exec, s[4:5]
	s_cbranch_execnz .LBB3_306
	s_branch .LBB3_225
.LBB3_307:                              ;   in Loop: Header=BB3_3 Depth=1
	s_branch .LBB3_424
.LBB3_308:                              ;   in Loop: Header=BB3_3 Depth=1
	global_load_dwordx2 v[0:1], v[0:1], off
	s_and_saveexec_b64 s[12:13], s[4:5]
	s_cbranch_execz .LBB3_312
; %bb.309:                              ;   in Loop: Header=BB3_3 Depth=1
	global_load_dwordx2 v[6:7], v51, s[8:9] offset:40
	global_load_dwordx2 v[8:9], v51, s[8:9] offset:24 glc
	global_load_dwordx2 v[10:11], v51, s[8:9]
	v_mov_b32_e32 v3, s11
	s_waitcnt vmcnt(2)
	v_add_co_u32_e32 v5, vcc, 1, v6
	v_addc_co_u32_e32 v12, vcc, 0, v7, vcc
	v_add_co_u32_e32 v2, vcc, s10, v5
	v_addc_co_u32_e32 v3, vcc, v12, v3, vcc
	v_cmp_eq_u64_e32 vcc, 0, v[2:3]
	v_cndmask_b32_e32 v3, v3, v12, vcc
	v_cndmask_b32_e32 v2, v2, v5, vcc
	v_and_b32_e32 v5, v3, v7
	v_and_b32_e32 v6, v2, v6
	v_mul_lo_u32 v5, v5, 24
	v_mul_hi_u32 v7, v6, 24
	v_mul_lo_u32 v6, v6, 24
	v_add_u32_e32 v5, v7, v5
	s_waitcnt vmcnt(0)
	v_add_co_u32_e32 v6, vcc, v10, v6
	v_addc_co_u32_e32 v7, vcc, v11, v5, vcc
	v_mov_b32_e32 v4, v8
	global_store_dwordx2 v[6:7], v[8:9], off
	v_mov_b32_e32 v5, v9
	buffer_wbl2
	s_waitcnt vmcnt(0)
	global_atomic_cmpswap_x2 v[4:5], v51, v[2:5], s[8:9] offset:24 glc
	s_waitcnt vmcnt(0)
	v_cmp_ne_u64_e32 vcc, v[4:5], v[8:9]
	s_and_b64 exec, exec, vcc
	s_cbranch_execz .LBB3_312
; %bb.310:                              ;   in Loop: Header=BB3_3 Depth=1
	s_mov_b64 s[4:5], 0
.LBB3_311:                              ;   Parent Loop BB3_3 Depth=1
                                        ; =>  This Inner Loop Header: Depth=2
	s_sleep 1
	global_store_dwordx2 v[6:7], v[4:5], off
	buffer_wbl2
	s_waitcnt vmcnt(0)
	global_atomic_cmpswap_x2 v[8:9], v51, v[2:5], s[8:9] offset:24 glc
	s_waitcnt vmcnt(0)
	v_cmp_eq_u64_e32 vcc, v[8:9], v[4:5]
	s_or_b64 s[4:5], vcc, s[4:5]
	v_pk_mov_b32 v[4:5], v[8:9], v[8:9] op_sel:[0,1]
	s_andn2_b64 exec, exec, s[4:5]
	s_cbranch_execnz .LBB3_311
.LBB3_312:                              ;   in Loop: Header=BB3_3 Depth=1
	s_or_b64 exec, exec, s[12:13]
	s_and_b64 vcc, exec, s[40:41]
	s_cbranch_vccz .LBB3_645
; %bb.313:                              ;   in Loop: Header=BB3_3 Depth=1
	s_waitcnt vmcnt(0)
	v_and_b32_e32 v22, 2, v0
	v_and_b32_e32 v2, -3, v0
	v_mov_b32_e32 v3, v1
	s_mov_b64 s[12:13], 45
	s_getpc_b64 s[10:11]
	s_add_u32 s10, s10, .str.4@rel32@lo+4
	s_addc_u32 s11, s11, .str.4@rel32@hi+12
	s_branch .LBB3_315
.LBB3_314:                              ;   in Loop: Header=BB3_315 Depth=2
	s_or_b64 exec, exec, s[22:23]
	s_sub_u32 s12, s12, s14
	s_subb_u32 s13, s13, s15
	s_add_u32 s10, s10, s14
	s_addc_u32 s11, s11, s15
	s_cmp_lg_u64 s[12:13], 0
	s_cbranch_scc0 .LBB3_643
.LBB3_315:                              ;   Parent Loop BB3_3 Depth=1
                                        ; =>  This Loop Header: Depth=2
                                        ;       Child Loop BB3_318 Depth 3
                                        ;       Child Loop BB3_325 Depth 3
	;; [unrolled: 1-line block ×11, first 2 shown]
	v_cmp_lt_u64_e64 s[4:5], s[12:13], 56
	s_and_b64 s[4:5], s[4:5], exec
	v_cmp_gt_u64_e64 s[4:5], s[12:13], 7
	s_cselect_b32 s15, s13, 0
	s_cselect_b32 s14, s12, 56
	s_and_b64 vcc, exec, s[4:5]
	s_cbranch_vccnz .LBB3_320
; %bb.316:                              ;   in Loop: Header=BB3_315 Depth=2
	s_mov_b64 s[4:5], 0
	s_cmp_eq_u64 s[12:13], 0
	s_waitcnt vmcnt(0)
	v_pk_mov_b32 v[4:5], 0, 0
	s_cbranch_scc1 .LBB3_319
; %bb.317:                              ;   in Loop: Header=BB3_315 Depth=2
	s_lshl_b64 s[16:17], s[14:15], 3
	s_mov_b64 s[22:23], 0
	v_pk_mov_b32 v[4:5], 0, 0
	s_mov_b64 s[24:25], s[10:11]
.LBB3_318:                              ;   Parent Loop BB3_3 Depth=1
                                        ;     Parent Loop BB3_315 Depth=2
                                        ; =>    This Inner Loop Header: Depth=3
	global_load_ubyte v6, v51, s[24:25]
	s_waitcnt vmcnt(0)
	v_and_b32_e32 v50, 0xffff, v6
	v_lshlrev_b64 v[6:7], s22, v[50:51]
	s_add_u32 s22, s22, 8
	s_addc_u32 s23, s23, 0
	s_add_u32 s24, s24, 1
	s_addc_u32 s25, s25, 0
	v_or_b32_e32 v4, v6, v4
	s_cmp_lg_u32 s16, s22
	v_or_b32_e32 v5, v7, v5
	s_cbranch_scc1 .LBB3_318
.LBB3_319:                              ;   in Loop: Header=BB3_315 Depth=2
	s_mov_b32 s24, 0
	s_andn2_b64 vcc, exec, s[4:5]
	s_mov_b64 s[4:5], s[10:11]
	s_cbranch_vccz .LBB3_321
	s_branch .LBB3_322
.LBB3_320:                              ;   in Loop: Header=BB3_315 Depth=2
                                        ; implicit-def: $vgpr4_vgpr5
                                        ; implicit-def: $sgpr24
	s_mov_b64 s[4:5], s[10:11]
.LBB3_321:                              ;   in Loop: Header=BB3_315 Depth=2
	global_load_dwordx2 v[4:5], v51, s[10:11]
	s_add_i32 s24, s14, -8
	s_add_u32 s4, s10, 8
	s_addc_u32 s5, s11, 0
.LBB3_322:                              ;   in Loop: Header=BB3_315 Depth=2
	s_cmp_gt_u32 s24, 7
	s_cbranch_scc1 .LBB3_326
; %bb.323:                              ;   in Loop: Header=BB3_315 Depth=2
	s_cmp_eq_u32 s24, 0
	s_cbranch_scc1 .LBB3_327
; %bb.324:                              ;   in Loop: Header=BB3_315 Depth=2
	s_mov_b64 s[16:17], 0
	v_pk_mov_b32 v[6:7], 0, 0
	s_mov_b64 s[22:23], 0
.LBB3_325:                              ;   Parent Loop BB3_3 Depth=1
                                        ;     Parent Loop BB3_315 Depth=2
                                        ; =>    This Inner Loop Header: Depth=3
	s_add_u32 vcc_lo, s4, s22
	s_addc_u32 vcc_hi, s5, s23
	global_load_ubyte v8, v51, vcc
	s_add_u32 s22, s22, 1
	s_addc_u32 s23, s23, 0
	s_waitcnt vmcnt(0)
	v_and_b32_e32 v50, 0xffff, v8
	v_lshlrev_b64 v[8:9], s16, v[50:51]
	s_add_u32 s16, s16, 8
	s_addc_u32 s17, s17, 0
	v_or_b32_e32 v6, v8, v6
	s_cmp_lg_u32 s24, s22
	v_or_b32_e32 v7, v9, v7
	s_cbranch_scc1 .LBB3_325
	s_branch .LBB3_328
.LBB3_326:                              ;   in Loop: Header=BB3_315 Depth=2
                                        ; implicit-def: $vgpr6_vgpr7
                                        ; implicit-def: $sgpr25
	s_branch .LBB3_329
.LBB3_327:                              ;   in Loop: Header=BB3_315 Depth=2
	v_pk_mov_b32 v[6:7], 0, 0
.LBB3_328:                              ;   in Loop: Header=BB3_315 Depth=2
	s_mov_b32 s25, 0
	s_cbranch_execnz .LBB3_330
.LBB3_329:                              ;   in Loop: Header=BB3_315 Depth=2
	global_load_dwordx2 v[6:7], v51, s[4:5]
	s_add_i32 s25, s24, -8
	s_add_u32 s4, s4, 8
	s_addc_u32 s5, s5, 0
.LBB3_330:                              ;   in Loop: Header=BB3_315 Depth=2
	s_cmp_gt_u32 s25, 7
	s_cbranch_scc1 .LBB3_334
; %bb.331:                              ;   in Loop: Header=BB3_315 Depth=2
	s_cmp_eq_u32 s25, 0
	s_cbranch_scc1 .LBB3_335
; %bb.332:                              ;   in Loop: Header=BB3_315 Depth=2
	s_mov_b64 s[16:17], 0
	v_pk_mov_b32 v[8:9], 0, 0
	s_mov_b64 s[22:23], 0
.LBB3_333:                              ;   Parent Loop BB3_3 Depth=1
                                        ;     Parent Loop BB3_315 Depth=2
                                        ; =>    This Inner Loop Header: Depth=3
	s_add_u32 vcc_lo, s4, s22
	s_addc_u32 vcc_hi, s5, s23
	global_load_ubyte v10, v51, vcc
	s_add_u32 s22, s22, 1
	s_addc_u32 s23, s23, 0
	s_waitcnt vmcnt(0)
	v_and_b32_e32 v50, 0xffff, v10
	v_lshlrev_b64 v[10:11], s16, v[50:51]
	s_add_u32 s16, s16, 8
	s_addc_u32 s17, s17, 0
	v_or_b32_e32 v8, v10, v8
	s_cmp_lg_u32 s25, s22
	v_or_b32_e32 v9, v11, v9
	s_cbranch_scc1 .LBB3_333
	s_branch .LBB3_336
.LBB3_334:                              ;   in Loop: Header=BB3_315 Depth=2
                                        ; implicit-def: $sgpr24
	s_branch .LBB3_337
.LBB3_335:                              ;   in Loop: Header=BB3_315 Depth=2
	v_pk_mov_b32 v[8:9], 0, 0
.LBB3_336:                              ;   in Loop: Header=BB3_315 Depth=2
	s_mov_b32 s24, 0
	s_cbranch_execnz .LBB3_338
.LBB3_337:                              ;   in Loop: Header=BB3_315 Depth=2
	global_load_dwordx2 v[8:9], v51, s[4:5]
	s_add_i32 s24, s25, -8
	s_add_u32 s4, s4, 8
	s_addc_u32 s5, s5, 0
.LBB3_338:                              ;   in Loop: Header=BB3_315 Depth=2
	s_cmp_gt_u32 s24, 7
	s_cbranch_scc1 .LBB3_342
; %bb.339:                              ;   in Loop: Header=BB3_315 Depth=2
	s_cmp_eq_u32 s24, 0
	s_cbranch_scc1 .LBB3_343
; %bb.340:                              ;   in Loop: Header=BB3_315 Depth=2
	s_mov_b64 s[16:17], 0
	v_pk_mov_b32 v[10:11], 0, 0
	s_mov_b64 s[22:23], 0
.LBB3_341:                              ;   Parent Loop BB3_3 Depth=1
                                        ;     Parent Loop BB3_315 Depth=2
                                        ; =>    This Inner Loop Header: Depth=3
	s_add_u32 vcc_lo, s4, s22
	s_addc_u32 vcc_hi, s5, s23
	global_load_ubyte v12, v51, vcc
	s_add_u32 s22, s22, 1
	s_addc_u32 s23, s23, 0
	s_waitcnt vmcnt(0)
	v_and_b32_e32 v50, 0xffff, v12
	v_lshlrev_b64 v[12:13], s16, v[50:51]
	s_add_u32 s16, s16, 8
	s_addc_u32 s17, s17, 0
	v_or_b32_e32 v10, v12, v10
	s_cmp_lg_u32 s24, s22
	v_or_b32_e32 v11, v13, v11
	s_cbranch_scc1 .LBB3_341
	s_branch .LBB3_344
.LBB3_342:                              ;   in Loop: Header=BB3_315 Depth=2
                                        ; implicit-def: $vgpr10_vgpr11
                                        ; implicit-def: $sgpr25
	s_branch .LBB3_345
.LBB3_343:                              ;   in Loop: Header=BB3_315 Depth=2
	v_pk_mov_b32 v[10:11], 0, 0
.LBB3_344:                              ;   in Loop: Header=BB3_315 Depth=2
	s_mov_b32 s25, 0
	s_cbranch_execnz .LBB3_346
.LBB3_345:                              ;   in Loop: Header=BB3_315 Depth=2
	global_load_dwordx2 v[10:11], v51, s[4:5]
	s_add_i32 s25, s24, -8
	s_add_u32 s4, s4, 8
	s_addc_u32 s5, s5, 0
.LBB3_346:                              ;   in Loop: Header=BB3_315 Depth=2
	s_cmp_gt_u32 s25, 7
	s_cbranch_scc1 .LBB3_350
; %bb.347:                              ;   in Loop: Header=BB3_315 Depth=2
	s_cmp_eq_u32 s25, 0
	s_cbranch_scc1 .LBB3_351
; %bb.348:                              ;   in Loop: Header=BB3_315 Depth=2
	s_mov_b64 s[16:17], 0
	v_pk_mov_b32 v[12:13], 0, 0
	s_mov_b64 s[22:23], 0
.LBB3_349:                              ;   Parent Loop BB3_3 Depth=1
                                        ;     Parent Loop BB3_315 Depth=2
                                        ; =>    This Inner Loop Header: Depth=3
	s_add_u32 vcc_lo, s4, s22
	s_addc_u32 vcc_hi, s5, s23
	global_load_ubyte v14, v51, vcc
	s_add_u32 s22, s22, 1
	s_addc_u32 s23, s23, 0
	s_waitcnt vmcnt(0)
	v_and_b32_e32 v50, 0xffff, v14
	v_lshlrev_b64 v[14:15], s16, v[50:51]
	s_add_u32 s16, s16, 8
	s_addc_u32 s17, s17, 0
	v_or_b32_e32 v12, v14, v12
	s_cmp_lg_u32 s25, s22
	v_or_b32_e32 v13, v15, v13
	s_cbranch_scc1 .LBB3_349
	s_branch .LBB3_352
.LBB3_350:                              ;   in Loop: Header=BB3_315 Depth=2
                                        ; implicit-def: $sgpr24
	s_branch .LBB3_353
.LBB3_351:                              ;   in Loop: Header=BB3_315 Depth=2
	v_pk_mov_b32 v[12:13], 0, 0
.LBB3_352:                              ;   in Loop: Header=BB3_315 Depth=2
	s_mov_b32 s24, 0
	s_cbranch_execnz .LBB3_354
.LBB3_353:                              ;   in Loop: Header=BB3_315 Depth=2
	global_load_dwordx2 v[12:13], v51, s[4:5]
	s_add_i32 s24, s25, -8
	s_add_u32 s4, s4, 8
	s_addc_u32 s5, s5, 0
.LBB3_354:                              ;   in Loop: Header=BB3_315 Depth=2
	s_cmp_gt_u32 s24, 7
	s_cbranch_scc1 .LBB3_358
; %bb.355:                              ;   in Loop: Header=BB3_315 Depth=2
	s_cmp_eq_u32 s24, 0
	s_cbranch_scc1 .LBB3_359
; %bb.356:                              ;   in Loop: Header=BB3_315 Depth=2
	s_mov_b64 s[16:17], 0
	v_pk_mov_b32 v[14:15], 0, 0
	s_mov_b64 s[22:23], 0
.LBB3_357:                              ;   Parent Loop BB3_3 Depth=1
                                        ;     Parent Loop BB3_315 Depth=2
                                        ; =>    This Inner Loop Header: Depth=3
	s_add_u32 vcc_lo, s4, s22
	s_addc_u32 vcc_hi, s5, s23
	global_load_ubyte v16, v51, vcc
	s_add_u32 s22, s22, 1
	s_addc_u32 s23, s23, 0
	s_waitcnt vmcnt(0)
	v_and_b32_e32 v50, 0xffff, v16
	v_lshlrev_b64 v[16:17], s16, v[50:51]
	s_add_u32 s16, s16, 8
	s_addc_u32 s17, s17, 0
	v_or_b32_e32 v14, v16, v14
	s_cmp_lg_u32 s24, s22
	v_or_b32_e32 v15, v17, v15
	s_cbranch_scc1 .LBB3_357
	s_branch .LBB3_360
.LBB3_358:                              ;   in Loop: Header=BB3_315 Depth=2
                                        ; implicit-def: $vgpr14_vgpr15
                                        ; implicit-def: $sgpr25
	s_branch .LBB3_361
.LBB3_359:                              ;   in Loop: Header=BB3_315 Depth=2
	v_pk_mov_b32 v[14:15], 0, 0
.LBB3_360:                              ;   in Loop: Header=BB3_315 Depth=2
	s_mov_b32 s25, 0
	s_cbranch_execnz .LBB3_362
.LBB3_361:                              ;   in Loop: Header=BB3_315 Depth=2
	global_load_dwordx2 v[14:15], v51, s[4:5]
	s_add_i32 s25, s24, -8
	s_add_u32 s4, s4, 8
	s_addc_u32 s5, s5, 0
.LBB3_362:                              ;   in Loop: Header=BB3_315 Depth=2
	s_cmp_gt_u32 s25, 7
	s_cbranch_scc1 .LBB3_366
; %bb.363:                              ;   in Loop: Header=BB3_315 Depth=2
	s_cmp_eq_u32 s25, 0
	s_cbranch_scc1 .LBB3_367
; %bb.364:                              ;   in Loop: Header=BB3_315 Depth=2
	s_mov_b64 s[16:17], 0
	v_pk_mov_b32 v[16:17], 0, 0
	s_mov_b64 s[22:23], s[4:5]
.LBB3_365:                              ;   Parent Loop BB3_3 Depth=1
                                        ;     Parent Loop BB3_315 Depth=2
                                        ; =>    This Inner Loop Header: Depth=3
	global_load_ubyte v18, v51, s[22:23]
	s_add_i32 s25, s25, -1
	s_waitcnt vmcnt(0)
	v_and_b32_e32 v50, 0xffff, v18
	v_lshlrev_b64 v[18:19], s16, v[50:51]
	s_add_u32 s16, s16, 8
	s_addc_u32 s17, s17, 0
	s_add_u32 s22, s22, 1
	s_addc_u32 s23, s23, 0
	v_or_b32_e32 v16, v18, v16
	s_cmp_lg_u32 s25, 0
	v_or_b32_e32 v17, v19, v17
	s_cbranch_scc1 .LBB3_365
	s_branch .LBB3_368
.LBB3_366:                              ;   in Loop: Header=BB3_315 Depth=2
	s_branch .LBB3_369
.LBB3_367:                              ;   in Loop: Header=BB3_315 Depth=2
	v_pk_mov_b32 v[16:17], 0, 0
.LBB3_368:                              ;   in Loop: Header=BB3_315 Depth=2
	s_cbranch_execnz .LBB3_370
.LBB3_369:                              ;   in Loop: Header=BB3_315 Depth=2
	global_load_dwordx2 v[16:17], v51, s[4:5]
.LBB3_370:                              ;   in Loop: Header=BB3_315 Depth=2
	v_readfirstlane_b32 s4, v57
	v_cmp_eq_u32_e64 s[4:5], s4, v57
	v_pk_mov_b32 v[24:25], 0, 0
	s_and_saveexec_b64 s[16:17], s[4:5]
	s_cbranch_execz .LBB3_376
; %bb.371:                              ;   in Loop: Header=BB3_315 Depth=2
	global_load_dwordx2 v[20:21], v51, s[8:9] offset:24 glc
	s_waitcnt vmcnt(0)
	buffer_invl2
	buffer_wbinvl1_vol
	global_load_dwordx2 v[18:19], v51, s[8:9] offset:40
	global_load_dwordx2 v[24:25], v51, s[8:9]
	s_waitcnt vmcnt(1)
	v_and_b32_e32 v18, v18, v20
	v_and_b32_e32 v19, v19, v21
	v_mul_lo_u32 v19, v19, 24
	v_mul_hi_u32 v29, v18, 24
	v_mul_lo_u32 v18, v18, 24
	v_add_u32_e32 v19, v29, v19
	s_waitcnt vmcnt(0)
	v_add_co_u32_e32 v18, vcc, v24, v18
	v_addc_co_u32_e32 v19, vcc, v25, v19, vcc
	global_load_dwordx2 v[18:19], v[18:19], off glc
	s_waitcnt vmcnt(0)
	global_atomic_cmpswap_x2 v[24:25], v51, v[18:21], s[8:9] offset:24 glc
	s_waitcnt vmcnt(0)
	buffer_invl2
	buffer_wbinvl1_vol
	v_cmp_ne_u64_e32 vcc, v[24:25], v[20:21]
	s_and_saveexec_b64 s[22:23], vcc
	s_cbranch_execz .LBB3_375
; %bb.372:                              ;   in Loop: Header=BB3_315 Depth=2
	s_mov_b64 s[24:25], 0
.LBB3_373:                              ;   Parent Loop BB3_3 Depth=1
                                        ;     Parent Loop BB3_315 Depth=2
                                        ; =>    This Inner Loop Header: Depth=3
	s_sleep 1
	global_load_dwordx2 v[18:19], v51, s[8:9] offset:40
	global_load_dwordx2 v[30:31], v51, s[8:9]
	v_pk_mov_b32 v[20:21], v[24:25], v[24:25] op_sel:[0,1]
	s_waitcnt vmcnt(1)
	v_and_b32_e32 v18, v18, v20
	v_and_b32_e32 v25, v19, v21
	s_waitcnt vmcnt(0)
	v_mad_u64_u32 v[18:19], vcc, v18, 24, v[30:31]
	v_mov_b32_e32 v24, v19
	v_mad_u64_u32 v[24:25], vcc, v25, 24, v[24:25]
	v_mov_b32_e32 v19, v24
	global_load_dwordx2 v[18:19], v[18:19], off glc
	s_waitcnt vmcnt(0)
	global_atomic_cmpswap_x2 v[24:25], v51, v[18:21], s[8:9] offset:24 glc
	s_waitcnt vmcnt(0)
	buffer_invl2
	buffer_wbinvl1_vol
	v_cmp_eq_u64_e32 vcc, v[24:25], v[20:21]
	s_or_b64 s[24:25], vcc, s[24:25]
	s_andn2_b64 exec, exec, s[24:25]
	s_cbranch_execnz .LBB3_373
; %bb.374:                              ;   in Loop: Header=BB3_315 Depth=2
	s_or_b64 exec, exec, s[24:25]
.LBB3_375:                              ;   in Loop: Header=BB3_315 Depth=2
	s_or_b64 exec, exec, s[22:23]
.LBB3_376:                              ;   in Loop: Header=BB3_315 Depth=2
	s_or_b64 exec, exec, s[16:17]
	global_load_dwordx2 v[30:31], v51, s[8:9] offset:40
	global_load_dwordx4 v[18:21], v51, s[8:9]
	v_readfirstlane_b32 s16, v24
	v_readfirstlane_b32 s17, v25
	s_mov_b64 s[22:23], exec
	s_waitcnt vmcnt(1)
	v_readfirstlane_b32 s24, v30
	v_readfirstlane_b32 s25, v31
	s_and_b64 s[24:25], s[16:17], s[24:25]
	s_mul_i32 s29, s25, 24
	s_mul_hi_u32 vcc_lo, s24, 24
	s_mul_i32 vcc_hi, s24, 24
	s_add_i32 s29, vcc_lo, s29
	v_mov_b32_e32 v25, s29
	s_waitcnt vmcnt(0)
	v_add_co_u32_e32 v24, vcc, vcc_hi, v18
	v_addc_co_u32_e32 v25, vcc, v19, v25, vcc
	s_and_saveexec_b64 vcc, s[4:5]
	s_cbranch_execz .LBB3_378
; %bb.377:                              ;   in Loop: Header=BB3_315 Depth=2
	v_pk_mov_b32 v[40:41], s[22:23], s[22:23] op_sel:[0,1]
	global_store_dwordx4 v[24:25], v[40:43], off offset:8
.LBB3_378:                              ;   in Loop: Header=BB3_315 Depth=2
	s_or_b64 exec, exec, vcc
	s_lshl_b64 s[22:23], s[24:25], 12
	v_mov_b32_e32 v29, s23
	v_add_co_u32_e32 v20, vcc, s22, v20
	v_addc_co_u32_e32 v21, vcc, v21, v29, vcc
	v_or_b32_e32 v30, v2, v22
	v_cmp_gt_u64_e64 vcc, s[12:13], 56
	s_lshl_b32 s22, s14, 2
	v_cndmask_b32_e32 v2, v30, v2, vcc
	s_add_i32 s22, s22, 28
	v_or_b32_e32 v29, 0, v3
	s_and_b32 s22, s22, 0x1e0
	v_and_b32_e32 v2, 0xffffff1f, v2
	v_cndmask_b32_e32 v3, v29, v3, vcc
	v_or_b32_e32 v2, s22, v2
	v_readfirstlane_b32 s22, v20
	v_readfirstlane_b32 s23, v21
	s_nop 4
	global_store_dwordx4 v27, v[2:5], s[22:23]
	global_store_dwordx4 v27, v[6:9], s[22:23] offset:16
	global_store_dwordx4 v27, v[10:13], s[22:23] offset:32
	;; [unrolled: 1-line block ×3, first 2 shown]
	s_and_saveexec_b64 s[22:23], s[4:5]
	s_cbranch_execz .LBB3_386
; %bb.379:                              ;   in Loop: Header=BB3_315 Depth=2
	global_load_dwordx2 v[10:11], v51, s[8:9] offset:32 glc
	global_load_dwordx2 v[2:3], v51, s[8:9] offset:40
	v_mov_b32_e32 v8, s16
	v_mov_b32_e32 v9, s17
	s_waitcnt vmcnt(0)
	v_readfirstlane_b32 s24, v2
	v_readfirstlane_b32 s25, v3
	s_and_b64 s[24:25], s[24:25], s[16:17]
	s_mul_i32 s25, s25, 24
	s_mul_hi_u32 s29, s24, 24
	s_mul_i32 s24, s24, 24
	s_add_i32 s25, s29, s25
	v_mov_b32_e32 v2, s25
	v_add_co_u32_e32 v6, vcc, s24, v18
	v_addc_co_u32_e32 v7, vcc, v19, v2, vcc
	global_store_dwordx2 v[6:7], v[10:11], off
	buffer_wbl2
	s_waitcnt vmcnt(0)
	global_atomic_cmpswap_x2 v[4:5], v51, v[8:11], s[8:9] offset:32 glc
	s_waitcnt vmcnt(0)
	v_cmp_ne_u64_e32 vcc, v[4:5], v[10:11]
	s_and_saveexec_b64 s[24:25], vcc
	s_cbranch_execz .LBB3_382
; %bb.380:                              ;   in Loop: Header=BB3_315 Depth=2
	s_mov_b64 s[30:31], 0
.LBB3_381:                              ;   Parent Loop BB3_3 Depth=1
                                        ;     Parent Loop BB3_315 Depth=2
                                        ; =>    This Inner Loop Header: Depth=3
	s_sleep 1
	global_store_dwordx2 v[6:7], v[4:5], off
	v_mov_b32_e32 v2, s16
	v_mov_b32_e32 v3, s17
	buffer_wbl2
	s_waitcnt vmcnt(0)
	global_atomic_cmpswap_x2 v[2:3], v51, v[2:5], s[8:9] offset:32 glc
	s_waitcnt vmcnt(0)
	v_cmp_eq_u64_e32 vcc, v[2:3], v[4:5]
	s_or_b64 s[30:31], vcc, s[30:31]
	v_pk_mov_b32 v[4:5], v[2:3], v[2:3] op_sel:[0,1]
	s_andn2_b64 exec, exec, s[30:31]
	s_cbranch_execnz .LBB3_381
.LBB3_382:                              ;   in Loop: Header=BB3_315 Depth=2
	s_or_b64 exec, exec, s[24:25]
	global_load_dwordx2 v[2:3], v51, s[8:9] offset:16
	s_mov_b64 s[30:31], exec
	v_mbcnt_lo_u32_b32 v4, s30, 0
	v_mbcnt_hi_u32_b32 v4, s31, v4
	v_cmp_eq_u32_e32 vcc, 0, v4
	s_and_saveexec_b64 s[24:25], vcc
	s_cbranch_execz .LBB3_384
; %bb.383:                              ;   in Loop: Header=BB3_315 Depth=2
	s_bcnt1_i32_b64 s29, s[30:31]
	v_mov_b32_e32 v50, s29
	buffer_wbl2
	s_waitcnt vmcnt(0)
	global_atomic_add_x2 v[2:3], v[50:51], off offset:8
.LBB3_384:                              ;   in Loop: Header=BB3_315 Depth=2
	s_or_b64 exec, exec, s[24:25]
	s_waitcnt vmcnt(0)
	global_load_dwordx2 v[4:5], v[2:3], off offset:16
	s_waitcnt vmcnt(0)
	v_cmp_eq_u64_e32 vcc, 0, v[4:5]
	s_cbranch_vccnz .LBB3_386
; %bb.385:                              ;   in Loop: Header=BB3_315 Depth=2
	global_load_dword v50, v[2:3], off offset:24
	s_waitcnt vmcnt(0)
	v_and_b32_e32 v2, 0xffffff, v50
	v_readfirstlane_b32 m0, v2
	buffer_wbl2
	global_store_dwordx2 v[4:5], v[50:51], off
	s_sendmsg sendmsg(MSG_INTERRUPT)
.LBB3_386:                              ;   in Loop: Header=BB3_315 Depth=2
	s_or_b64 exec, exec, s[22:23]
	v_add_co_u32_e32 v2, vcc, v20, v27
	v_addc_co_u32_e32 v3, vcc, 0, v21, vcc
	s_branch .LBB3_390
.LBB3_387:                              ;   in Loop: Header=BB3_390 Depth=3
	s_or_b64 exec, exec, s[22:23]
	v_readfirstlane_b32 s22, v4
	s_cmp_eq_u32 s22, 0
	s_cbranch_scc1 .LBB3_389
; %bb.388:                              ;   in Loop: Header=BB3_390 Depth=3
	s_sleep 1
	s_cbranch_execnz .LBB3_390
	s_branch .LBB3_392
.LBB3_389:                              ;   in Loop: Header=BB3_315 Depth=2
	s_branch .LBB3_392
.LBB3_390:                              ;   Parent Loop BB3_3 Depth=1
                                        ;     Parent Loop BB3_315 Depth=2
                                        ; =>    This Inner Loop Header: Depth=3
	v_mov_b32_e32 v4, 1
	s_and_saveexec_b64 s[22:23], s[4:5]
	s_cbranch_execz .LBB3_387
; %bb.391:                              ;   in Loop: Header=BB3_390 Depth=3
	global_load_dword v4, v[24:25], off offset:20 glc
	s_waitcnt vmcnt(0)
	buffer_invl2
	buffer_wbinvl1_vol
	v_and_b32_e32 v4, 1, v4
	s_branch .LBB3_387
.LBB3_392:                              ;   in Loop: Header=BB3_315 Depth=2
	global_load_dwordx4 v[2:5], v[2:3], off
	s_and_saveexec_b64 s[22:23], s[4:5]
	s_cbranch_execz .LBB3_314
; %bb.393:                              ;   in Loop: Header=BB3_315 Depth=2
	global_load_dwordx2 v[8:9], v51, s[8:9] offset:40
	global_load_dwordx2 v[10:11], v51, s[8:9] offset:24 glc
	global_load_dwordx2 v[12:13], v51, s[8:9]
	s_waitcnt vmcnt(3)
	v_mov_b32_e32 v5, s17
	s_waitcnt vmcnt(2)
	v_add_co_u32_e32 v7, vcc, 1, v8
	v_addc_co_u32_e32 v14, vcc, 0, v9, vcc
	v_add_co_u32_e32 v4, vcc, s16, v7
	v_addc_co_u32_e32 v5, vcc, v14, v5, vcc
	v_cmp_eq_u64_e32 vcc, 0, v[4:5]
	v_cndmask_b32_e32 v5, v5, v14, vcc
	v_cndmask_b32_e32 v4, v4, v7, vcc
	v_and_b32_e32 v7, v5, v9
	v_and_b32_e32 v8, v4, v8
	v_mul_lo_u32 v7, v7, 24
	v_mul_hi_u32 v9, v8, 24
	v_mul_lo_u32 v8, v8, 24
	v_add_u32_e32 v7, v9, v7
	s_waitcnt vmcnt(0)
	v_add_co_u32_e32 v8, vcc, v12, v8
	v_addc_co_u32_e32 v9, vcc, v13, v7, vcc
	v_mov_b32_e32 v6, v10
	global_store_dwordx2 v[8:9], v[10:11], off
	v_mov_b32_e32 v7, v11
	buffer_wbl2
	s_waitcnt vmcnt(0)
	global_atomic_cmpswap_x2 v[6:7], v51, v[4:7], s[8:9] offset:24 glc
	s_waitcnt vmcnt(0)
	v_cmp_ne_u64_e32 vcc, v[6:7], v[10:11]
	s_and_b64 exec, exec, vcc
	s_cbranch_execz .LBB3_314
; %bb.394:                              ;   in Loop: Header=BB3_315 Depth=2
	s_mov_b64 s[4:5], 0
.LBB3_395:                              ;   Parent Loop BB3_3 Depth=1
                                        ;     Parent Loop BB3_315 Depth=2
                                        ; =>    This Inner Loop Header: Depth=3
	s_sleep 1
	global_store_dwordx2 v[8:9], v[6:7], off
	buffer_wbl2
	s_waitcnt vmcnt(0)
	global_atomic_cmpswap_x2 v[10:11], v51, v[4:7], s[8:9] offset:24 glc
	s_waitcnt vmcnt(0)
	v_cmp_eq_u64_e32 vcc, v[10:11], v[6:7]
	s_or_b64 s[4:5], vcc, s[4:5]
	v_pk_mov_b32 v[6:7], v[10:11], v[10:11] op_sel:[0,1]
	s_andn2_b64 exec, exec, s[4:5]
	s_cbranch_execnz .LBB3_395
	s_branch .LBB3_314
.LBB3_396:                              ;   in Loop: Header=BB3_3 Depth=1
                                        ; implicit-def: $vgpr2_vgpr3
	s_cbranch_execz .LBB3_424
; %bb.397:                              ;   in Loop: Header=BB3_3 Depth=1
	v_readfirstlane_b32 s4, v57
	v_cmp_eq_u32_e64 s[4:5], s4, v57
	s_waitcnt vmcnt(0)
	v_pk_mov_b32 v[2:3], 0, 0
	s_and_saveexec_b64 s[10:11], s[4:5]
	s_cbranch_execz .LBB3_403
; %bb.398:                              ;   in Loop: Header=BB3_3 Depth=1
	global_load_dwordx2 v[4:5], v51, s[8:9] offset:24 glc
	s_waitcnt vmcnt(0)
	buffer_invl2
	buffer_wbinvl1_vol
	global_load_dwordx2 v[2:3], v51, s[8:9] offset:40
	global_load_dwordx2 v[6:7], v51, s[8:9]
	s_waitcnt vmcnt(1)
	v_and_b32_e32 v2, v2, v4
	v_and_b32_e32 v3, v3, v5
	v_mul_lo_u32 v3, v3, 24
	v_mul_hi_u32 v8, v2, 24
	v_mul_lo_u32 v2, v2, 24
	v_add_u32_e32 v3, v8, v3
	s_waitcnt vmcnt(0)
	v_add_co_u32_e32 v2, vcc, v6, v2
	v_addc_co_u32_e32 v3, vcc, v7, v3, vcc
	global_load_dwordx2 v[2:3], v[2:3], off glc
	s_waitcnt vmcnt(0)
	global_atomic_cmpswap_x2 v[2:3], v51, v[2:5], s[8:9] offset:24 glc
	s_waitcnt vmcnt(0)
	buffer_invl2
	buffer_wbinvl1_vol
	v_cmp_ne_u64_e32 vcc, v[2:3], v[4:5]
	s_and_saveexec_b64 s[12:13], vcc
	s_cbranch_execz .LBB3_402
; %bb.399:                              ;   in Loop: Header=BB3_3 Depth=1
	s_mov_b64 s[14:15], 0
.LBB3_400:                              ;   Parent Loop BB3_3 Depth=1
                                        ; =>  This Inner Loop Header: Depth=2
	s_sleep 1
	global_load_dwordx2 v[6:7], v51, s[8:9] offset:40
	global_load_dwordx2 v[8:9], v51, s[8:9]
	v_pk_mov_b32 v[4:5], v[2:3], v[2:3] op_sel:[0,1]
	s_waitcnt vmcnt(1)
	v_and_b32_e32 v2, v6, v4
	s_waitcnt vmcnt(0)
	v_mad_u64_u32 v[2:3], s[16:17], v2, 24, v[8:9]
	v_and_b32_e32 v7, v7, v5
	v_mov_b32_e32 v6, v3
	v_mad_u64_u32 v[6:7], s[16:17], v7, 24, v[6:7]
	v_mov_b32_e32 v3, v6
	global_load_dwordx2 v[2:3], v[2:3], off glc
	s_waitcnt vmcnt(0)
	global_atomic_cmpswap_x2 v[2:3], v51, v[2:5], s[8:9] offset:24 glc
	s_waitcnt vmcnt(0)
	buffer_invl2
	buffer_wbinvl1_vol
	v_cmp_eq_u64_e32 vcc, v[2:3], v[4:5]
	s_or_b64 s[14:15], vcc, s[14:15]
	s_andn2_b64 exec, exec, s[14:15]
	s_cbranch_execnz .LBB3_400
; %bb.401:                              ;   in Loop: Header=BB3_3 Depth=1
	s_or_b64 exec, exec, s[14:15]
.LBB3_402:                              ;   in Loop: Header=BB3_3 Depth=1
	s_or_b64 exec, exec, s[12:13]
.LBB3_403:                              ;   in Loop: Header=BB3_3 Depth=1
	s_or_b64 exec, exec, s[10:11]
	global_load_dwordx2 v[8:9], v51, s[8:9] offset:40
	global_load_dwordx4 v[4:7], v51, s[8:9]
	v_readfirstlane_b32 s10, v2
	v_readfirstlane_b32 s11, v3
	s_mov_b64 s[12:13], exec
	s_waitcnt vmcnt(1)
	v_readfirstlane_b32 s14, v8
	v_readfirstlane_b32 s15, v9
	s_and_b64 s[14:15], s[10:11], s[14:15]
	s_mul_i32 s16, s15, 24
	s_mul_hi_u32 s17, s14, 24
	s_mul_i32 s20, s14, 24
	s_add_i32 s16, s17, s16
	v_mov_b32_e32 v2, s16
	s_waitcnt vmcnt(0)
	v_add_co_u32_e32 v8, vcc, s20, v4
	v_addc_co_u32_e32 v9, vcc, v5, v2, vcc
	s_and_saveexec_b64 s[16:17], s[4:5]
	s_cbranch_execz .LBB3_405
; %bb.404:                              ;   in Loop: Header=BB3_3 Depth=1
	v_pk_mov_b32 v[40:41], s[12:13], s[12:13] op_sel:[0,1]
	global_store_dwordx4 v[8:9], v[40:43], off offset:8
.LBB3_405:                              ;   in Loop: Header=BB3_3 Depth=1
	s_or_b64 exec, exec, s[16:17]
	s_lshl_b64 s[12:13], s[14:15], 12
	v_mov_b32_e32 v2, s13
	v_add_co_u32_e32 v6, vcc, s12, v6
	v_addc_co_u32_e32 v7, vcc, v7, v2, vcc
	v_and_or_b32 v0, v0, s71, 32
	v_mov_b32_e32 v2, v51
	v_mov_b32_e32 v3, v51
	v_readfirstlane_b32 s12, v6
	v_readfirstlane_b32 s13, v7
	s_mov_b32 s29, s28
	s_mov_b32 s30, s28
	;; [unrolled: 1-line block ×3, first 2 shown]
	s_nop 1
	global_store_dwordx4 v27, v[0:3], s[12:13]
	s_nop 0
	v_pk_mov_b32 v[0:1], s[28:29], s[28:29] op_sel:[0,1]
	v_pk_mov_b32 v[2:3], s[30:31], s[30:31] op_sel:[0,1]
	global_store_dwordx4 v27, v[0:3], s[12:13] offset:16
	global_store_dwordx4 v27, v[0:3], s[12:13] offset:32
	global_store_dwordx4 v27, v[0:3], s[12:13] offset:48
	s_and_saveexec_b64 s[12:13], s[4:5]
	s_cbranch_execz .LBB3_413
; %bb.406:                              ;   in Loop: Header=BB3_3 Depth=1
	global_load_dwordx2 v[12:13], v51, s[8:9] offset:32 glc
	global_load_dwordx2 v[0:1], v51, s[8:9] offset:40
	v_mov_b32_e32 v10, s10
	v_mov_b32_e32 v11, s11
	s_waitcnt vmcnt(0)
	v_readfirstlane_b32 s14, v0
	v_readfirstlane_b32 s15, v1
	s_and_b64 s[14:15], s[14:15], s[10:11]
	s_mul_i32 s15, s15, 24
	s_mul_hi_u32 s16, s14, 24
	s_mul_i32 s14, s14, 24
	s_add_i32 s15, s16, s15
	v_mov_b32_e32 v0, s15
	v_add_co_u32_e32 v4, vcc, s14, v4
	v_addc_co_u32_e32 v5, vcc, v5, v0, vcc
	global_store_dwordx2 v[4:5], v[12:13], off
	buffer_wbl2
	s_waitcnt vmcnt(0)
	global_atomic_cmpswap_x2 v[2:3], v51, v[10:13], s[8:9] offset:32 glc
	s_waitcnt vmcnt(0)
	v_cmp_ne_u64_e32 vcc, v[2:3], v[12:13]
	s_and_saveexec_b64 s[14:15], vcc
	s_cbranch_execz .LBB3_409
; %bb.407:                              ;   in Loop: Header=BB3_3 Depth=1
	s_mov_b64 s[16:17], 0
.LBB3_408:                              ;   Parent Loop BB3_3 Depth=1
                                        ; =>  This Inner Loop Header: Depth=2
	s_sleep 1
	global_store_dwordx2 v[4:5], v[2:3], off
	v_mov_b32_e32 v0, s10
	v_mov_b32_e32 v1, s11
	buffer_wbl2
	s_waitcnt vmcnt(0)
	global_atomic_cmpswap_x2 v[0:1], v51, v[0:3], s[8:9] offset:32 glc
	s_waitcnt vmcnt(0)
	v_cmp_eq_u64_e32 vcc, v[0:1], v[2:3]
	s_or_b64 s[16:17], vcc, s[16:17]
	v_pk_mov_b32 v[2:3], v[0:1], v[0:1] op_sel:[0,1]
	s_andn2_b64 exec, exec, s[16:17]
	s_cbranch_execnz .LBB3_408
.LBB3_409:                              ;   in Loop: Header=BB3_3 Depth=1
	s_or_b64 exec, exec, s[14:15]
	global_load_dwordx2 v[0:1], v51, s[8:9] offset:16
	s_mov_b64 s[16:17], exec
	v_mbcnt_lo_u32_b32 v2, s16, 0
	v_mbcnt_hi_u32_b32 v2, s17, v2
	v_cmp_eq_u32_e32 vcc, 0, v2
	s_and_saveexec_b64 s[14:15], vcc
	s_cbranch_execz .LBB3_411
; %bb.410:                              ;   in Loop: Header=BB3_3 Depth=1
	s_bcnt1_i32_b64 s16, s[16:17]
	v_mov_b32_e32 v50, s16
	buffer_wbl2
	s_waitcnt vmcnt(0)
	global_atomic_add_x2 v[0:1], v[50:51], off offset:8
.LBB3_411:                              ;   in Loop: Header=BB3_3 Depth=1
	s_or_b64 exec, exec, s[14:15]
	s_waitcnt vmcnt(0)
	global_load_dwordx2 v[2:3], v[0:1], off offset:16
	s_waitcnt vmcnt(0)
	v_cmp_eq_u64_e32 vcc, 0, v[2:3]
	s_cbranch_vccnz .LBB3_413
; %bb.412:                              ;   in Loop: Header=BB3_3 Depth=1
	global_load_dword v50, v[0:1], off offset:24
	s_waitcnt vmcnt(0)
	v_and_b32_e32 v0, 0xffffff, v50
	v_readfirstlane_b32 m0, v0
	buffer_wbl2
	global_store_dwordx2 v[2:3], v[50:51], off
	s_sendmsg sendmsg(MSG_INTERRUPT)
.LBB3_413:                              ;   in Loop: Header=BB3_3 Depth=1
	s_or_b64 exec, exec, s[12:13]
	v_add_co_u32_e32 v0, vcc, v6, v27
	v_addc_co_u32_e32 v1, vcc, 0, v7, vcc
	s_branch .LBB3_417
.LBB3_414:                              ;   in Loop: Header=BB3_417 Depth=2
	s_or_b64 exec, exec, s[12:13]
	v_readfirstlane_b32 s12, v2
	s_cmp_eq_u32 s12, 0
	s_cbranch_scc1 .LBB3_416
; %bb.415:                              ;   in Loop: Header=BB3_417 Depth=2
	s_sleep 1
	s_cbranch_execnz .LBB3_417
	s_branch .LBB3_419
.LBB3_416:                              ;   in Loop: Header=BB3_3 Depth=1
	s_branch .LBB3_419
.LBB3_417:                              ;   Parent Loop BB3_3 Depth=1
                                        ; =>  This Inner Loop Header: Depth=2
	v_mov_b32_e32 v2, 1
	s_and_saveexec_b64 s[12:13], s[4:5]
	s_cbranch_execz .LBB3_414
; %bb.418:                              ;   in Loop: Header=BB3_417 Depth=2
	global_load_dword v2, v[8:9], off offset:20 glc
	s_waitcnt vmcnt(0)
	buffer_invl2
	buffer_wbinvl1_vol
	v_and_b32_e32 v2, 1, v2
	s_branch .LBB3_414
.LBB3_419:                              ;   in Loop: Header=BB3_3 Depth=1
	global_load_dwordx2 v[2:3], v[0:1], off
	s_and_saveexec_b64 s[12:13], s[4:5]
	s_cbranch_execz .LBB3_423
; %bb.420:                              ;   in Loop: Header=BB3_3 Depth=1
	global_load_dwordx2 v[0:1], v51, s[8:9] offset:40
	global_load_dwordx2 v[8:9], v51, s[8:9] offset:24 glc
	global_load_dwordx2 v[10:11], v51, s[8:9]
	v_mov_b32_e32 v5, s11
	s_waitcnt vmcnt(2)
	v_add_co_u32_e32 v7, vcc, 1, v0
	v_addc_co_u32_e32 v12, vcc, 0, v1, vcc
	v_add_co_u32_e32 v4, vcc, s10, v7
	v_addc_co_u32_e32 v5, vcc, v12, v5, vcc
	v_cmp_eq_u64_e32 vcc, 0, v[4:5]
	v_cndmask_b32_e32 v5, v5, v12, vcc
	v_cndmask_b32_e32 v4, v4, v7, vcc
	v_and_b32_e32 v1, v5, v1
	v_and_b32_e32 v0, v4, v0
	v_mul_lo_u32 v1, v1, 24
	v_mul_hi_u32 v7, v0, 24
	v_mul_lo_u32 v0, v0, 24
	v_add_u32_e32 v1, v7, v1
	s_waitcnt vmcnt(0)
	v_add_co_u32_e32 v0, vcc, v10, v0
	v_addc_co_u32_e32 v1, vcc, v11, v1, vcc
	v_mov_b32_e32 v6, v8
	global_store_dwordx2 v[0:1], v[8:9], off
	v_mov_b32_e32 v7, v9
	buffer_wbl2
	s_waitcnt vmcnt(0)
	global_atomic_cmpswap_x2 v[6:7], v51, v[4:7], s[8:9] offset:24 glc
	s_waitcnt vmcnt(0)
	v_cmp_ne_u64_e32 vcc, v[6:7], v[8:9]
	s_and_b64 exec, exec, vcc
	s_cbranch_execz .LBB3_423
; %bb.421:                              ;   in Loop: Header=BB3_3 Depth=1
	s_mov_b64 s[4:5], 0
.LBB3_422:                              ;   Parent Loop BB3_3 Depth=1
                                        ; =>  This Inner Loop Header: Depth=2
	s_sleep 1
	global_store_dwordx2 v[0:1], v[6:7], off
	buffer_wbl2
	s_waitcnt vmcnt(0)
	global_atomic_cmpswap_x2 v[8:9], v51, v[4:7], s[8:9] offset:24 glc
	s_waitcnt vmcnt(0)
	v_cmp_eq_u64_e32 vcc, v[8:9], v[6:7]
	s_or_b64 s[4:5], vcc, s[4:5]
	v_pk_mov_b32 v[6:7], v[8:9], v[8:9] op_sel:[0,1]
	s_andn2_b64 exec, exec, s[4:5]
	s_cbranch_execnz .LBB3_422
.LBB3_423:                              ;   in Loop: Header=BB3_3 Depth=1
	s_or_b64 exec, exec, s[12:13]
.LBB3_424:                              ;   in Loop: Header=BB3_3 Depth=1
	v_readfirstlane_b32 s4, v57
	v_cmp_eq_u32_e64 s[4:5], s4, v57
	s_waitcnt vmcnt(0)
	v_pk_mov_b32 v[0:1], 0, 0
	s_and_saveexec_b64 s[10:11], s[4:5]
	s_cbranch_execz .LBB3_430
; %bb.425:                              ;   in Loop: Header=BB3_3 Depth=1
	global_load_dwordx2 v[6:7], v51, s[8:9] offset:24 glc
	s_waitcnt vmcnt(0)
	buffer_invl2
	buffer_wbinvl1_vol
	global_load_dwordx2 v[0:1], v51, s[8:9] offset:40
	global_load_dwordx2 v[4:5], v51, s[8:9]
	s_waitcnt vmcnt(1)
	v_and_b32_e32 v0, v0, v6
	v_and_b32_e32 v1, v1, v7
	v_mul_lo_u32 v1, v1, 24
	v_mul_hi_u32 v8, v0, 24
	v_mul_lo_u32 v0, v0, 24
	v_add_u32_e32 v1, v8, v1
	s_waitcnt vmcnt(0)
	v_add_co_u32_e32 v0, vcc, v4, v0
	v_addc_co_u32_e32 v1, vcc, v5, v1, vcc
	global_load_dwordx2 v[4:5], v[0:1], off glc
	s_waitcnt vmcnt(0)
	global_atomic_cmpswap_x2 v[0:1], v51, v[4:7], s[8:9] offset:24 glc
	s_waitcnt vmcnt(0)
	buffer_invl2
	buffer_wbinvl1_vol
	v_cmp_ne_u64_e32 vcc, v[0:1], v[6:7]
	s_and_saveexec_b64 s[12:13], vcc
	s_cbranch_execz .LBB3_429
; %bb.426:                              ;   in Loop: Header=BB3_3 Depth=1
	s_mov_b64 s[14:15], 0
.LBB3_427:                              ;   Parent Loop BB3_3 Depth=1
                                        ; =>  This Inner Loop Header: Depth=2
	s_sleep 1
	global_load_dwordx2 v[4:5], v51, s[8:9] offset:40
	global_load_dwordx2 v[8:9], v51, s[8:9]
	v_pk_mov_b32 v[6:7], v[0:1], v[0:1] op_sel:[0,1]
	s_waitcnt vmcnt(1)
	v_and_b32_e32 v0, v4, v6
	s_waitcnt vmcnt(0)
	v_mad_u64_u32 v[0:1], s[16:17], v0, 24, v[8:9]
	v_and_b32_e32 v5, v5, v7
	v_mov_b32_e32 v4, v1
	v_mad_u64_u32 v[4:5], s[16:17], v5, 24, v[4:5]
	v_mov_b32_e32 v1, v4
	global_load_dwordx2 v[4:5], v[0:1], off glc
	s_waitcnt vmcnt(0)
	global_atomic_cmpswap_x2 v[0:1], v51, v[4:7], s[8:9] offset:24 glc
	s_waitcnt vmcnt(0)
	buffer_invl2
	buffer_wbinvl1_vol
	v_cmp_eq_u64_e32 vcc, v[0:1], v[6:7]
	s_or_b64 s[14:15], vcc, s[14:15]
	s_andn2_b64 exec, exec, s[14:15]
	s_cbranch_execnz .LBB3_427
; %bb.428:                              ;   in Loop: Header=BB3_3 Depth=1
	s_or_b64 exec, exec, s[14:15]
.LBB3_429:                              ;   in Loop: Header=BB3_3 Depth=1
	s_or_b64 exec, exec, s[12:13]
.LBB3_430:                              ;   in Loop: Header=BB3_3 Depth=1
	s_or_b64 exec, exec, s[10:11]
	global_load_dwordx2 v[4:5], v51, s[8:9] offset:40
	global_load_dwordx4 v[6:9], v51, s[8:9]
	v_readfirstlane_b32 s10, v0
	v_readfirstlane_b32 s11, v1
	s_mov_b64 s[12:13], exec
	s_waitcnt vmcnt(1)
	v_readfirstlane_b32 s14, v4
	v_readfirstlane_b32 s15, v5
	s_and_b64 s[14:15], s[10:11], s[14:15]
	s_mul_i32 s16, s15, 24
	s_mul_hi_u32 s17, s14, 24
	s_mul_i32 s20, s14, 24
	s_add_i32 s16, s17, s16
	v_mov_b32_e32 v0, s16
	s_waitcnt vmcnt(0)
	v_add_co_u32_e32 v10, vcc, s20, v6
	v_addc_co_u32_e32 v11, vcc, v7, v0, vcc
	s_and_saveexec_b64 s[16:17], s[4:5]
	s_cbranch_execz .LBB3_432
; %bb.431:                              ;   in Loop: Header=BB3_3 Depth=1
	v_pk_mov_b32 v[40:41], s[12:13], s[12:13] op_sel:[0,1]
	global_store_dwordx4 v[10:11], v[40:43], off offset:8
.LBB3_432:                              ;   in Loop: Header=BB3_3 Depth=1
	s_or_b64 exec, exec, s[16:17]
	s_lshl_b64 s[12:13], s[14:15], 12
	v_mov_b32_e32 v0, s13
	v_add_co_u32_e32 v8, vcc, s12, v8
	v_addc_co_u32_e32 v9, vcc, v9, v0, vcc
	v_and_or_b32 v2, v2, s71, 32
	v_mov_b32_e32 v4, v54
	v_mov_b32_e32 v5, v55
	v_readfirstlane_b32 s12, v8
	v_readfirstlane_b32 s13, v9
	s_mov_b32 s29, s28
	s_mov_b32 s30, s28
	;; [unrolled: 1-line block ×3, first 2 shown]
	s_nop 1
	global_store_dwordx4 v27, v[2:5], s[12:13]
	v_pk_mov_b32 v[0:1], s[28:29], s[28:29] op_sel:[0,1]
	v_pk_mov_b32 v[2:3], s[30:31], s[30:31] op_sel:[0,1]
	global_store_dwordx4 v27, v[0:3], s[12:13] offset:16
	global_store_dwordx4 v27, v[0:3], s[12:13] offset:32
	;; [unrolled: 1-line block ×3, first 2 shown]
	s_and_saveexec_b64 s[12:13], s[4:5]
	s_cbranch_execz .LBB3_440
; %bb.433:                              ;   in Loop: Header=BB3_3 Depth=1
	global_load_dwordx2 v[14:15], v51, s[8:9] offset:32 glc
	global_load_dwordx2 v[0:1], v51, s[8:9] offset:40
	v_mov_b32_e32 v12, s10
	v_mov_b32_e32 v13, s11
	s_waitcnt vmcnt(0)
	v_readfirstlane_b32 s14, v0
	v_readfirstlane_b32 s15, v1
	s_and_b64 s[14:15], s[14:15], s[10:11]
	s_mul_i32 s15, s15, 24
	s_mul_hi_u32 s16, s14, 24
	s_mul_i32 s14, s14, 24
	s_add_i32 s15, s16, s15
	v_mov_b32_e32 v0, s15
	v_add_co_u32_e32 v4, vcc, s14, v6
	v_addc_co_u32_e32 v5, vcc, v7, v0, vcc
	global_store_dwordx2 v[4:5], v[14:15], off
	buffer_wbl2
	s_waitcnt vmcnt(0)
	global_atomic_cmpswap_x2 v[2:3], v51, v[12:15], s[8:9] offset:32 glc
	s_waitcnt vmcnt(0)
	v_cmp_ne_u64_e32 vcc, v[2:3], v[14:15]
	s_and_saveexec_b64 s[14:15], vcc
	s_cbranch_execz .LBB3_436
; %bb.434:                              ;   in Loop: Header=BB3_3 Depth=1
	s_mov_b64 s[16:17], 0
.LBB3_435:                              ;   Parent Loop BB3_3 Depth=1
                                        ; =>  This Inner Loop Header: Depth=2
	s_sleep 1
	global_store_dwordx2 v[4:5], v[2:3], off
	v_mov_b32_e32 v0, s10
	v_mov_b32_e32 v1, s11
	buffer_wbl2
	s_waitcnt vmcnt(0)
	global_atomic_cmpswap_x2 v[0:1], v51, v[0:3], s[8:9] offset:32 glc
	s_waitcnt vmcnt(0)
	v_cmp_eq_u64_e32 vcc, v[0:1], v[2:3]
	s_or_b64 s[16:17], vcc, s[16:17]
	v_pk_mov_b32 v[2:3], v[0:1], v[0:1] op_sel:[0,1]
	s_andn2_b64 exec, exec, s[16:17]
	s_cbranch_execnz .LBB3_435
.LBB3_436:                              ;   in Loop: Header=BB3_3 Depth=1
	s_or_b64 exec, exec, s[14:15]
	global_load_dwordx2 v[0:1], v51, s[8:9] offset:16
	s_mov_b64 s[16:17], exec
	v_mbcnt_lo_u32_b32 v2, s16, 0
	v_mbcnt_hi_u32_b32 v2, s17, v2
	v_cmp_eq_u32_e32 vcc, 0, v2
	s_and_saveexec_b64 s[14:15], vcc
	s_cbranch_execz .LBB3_438
; %bb.437:                              ;   in Loop: Header=BB3_3 Depth=1
	s_bcnt1_i32_b64 s16, s[16:17]
	v_mov_b32_e32 v50, s16
	buffer_wbl2
	s_waitcnt vmcnt(0)
	global_atomic_add_x2 v[0:1], v[50:51], off offset:8
.LBB3_438:                              ;   in Loop: Header=BB3_3 Depth=1
	s_or_b64 exec, exec, s[14:15]
	s_waitcnt vmcnt(0)
	global_load_dwordx2 v[2:3], v[0:1], off offset:16
	s_waitcnt vmcnt(0)
	v_cmp_eq_u64_e32 vcc, 0, v[2:3]
	s_cbranch_vccnz .LBB3_440
; %bb.439:                              ;   in Loop: Header=BB3_3 Depth=1
	global_load_dword v50, v[0:1], off offset:24
	s_waitcnt vmcnt(0)
	v_and_b32_e32 v0, 0xffffff, v50
	v_readfirstlane_b32 m0, v0
	buffer_wbl2
	global_store_dwordx2 v[2:3], v[50:51], off
	s_sendmsg sendmsg(MSG_INTERRUPT)
.LBB3_440:                              ;   in Loop: Header=BB3_3 Depth=1
	s_or_b64 exec, exec, s[12:13]
	v_add_co_u32_e32 v0, vcc, v8, v27
	v_addc_co_u32_e32 v1, vcc, 0, v9, vcc
	s_branch .LBB3_444
.LBB3_441:                              ;   in Loop: Header=BB3_444 Depth=2
	s_or_b64 exec, exec, s[12:13]
	v_readfirstlane_b32 s12, v2
	s_cmp_eq_u32 s12, 0
	s_cbranch_scc1 .LBB3_443
; %bb.442:                              ;   in Loop: Header=BB3_444 Depth=2
	s_sleep 1
	s_cbranch_execnz .LBB3_444
	s_branch .LBB3_446
.LBB3_443:                              ;   in Loop: Header=BB3_3 Depth=1
	s_branch .LBB3_446
.LBB3_444:                              ;   Parent Loop BB3_3 Depth=1
                                        ; =>  This Inner Loop Header: Depth=2
	v_mov_b32_e32 v2, 1
	s_and_saveexec_b64 s[12:13], s[4:5]
	s_cbranch_execz .LBB3_441
; %bb.445:                              ;   in Loop: Header=BB3_444 Depth=2
	global_load_dword v2, v[10:11], off offset:20 glc
	s_waitcnt vmcnt(0)
	buffer_invl2
	buffer_wbinvl1_vol
	v_and_b32_e32 v2, 1, v2
	s_branch .LBB3_441
.LBB3_446:                              ;   in Loop: Header=BB3_3 Depth=1
	global_load_dwordx2 v[52:53], v[0:1], off
	s_and_saveexec_b64 s[12:13], s[4:5]
	s_cbranch_execz .LBB3_450
; %bb.447:                              ;   in Loop: Header=BB3_3 Depth=1
	global_load_dwordx2 v[4:5], v51, s[8:9] offset:40
	global_load_dwordx2 v[6:7], v51, s[8:9] offset:24 glc
	global_load_dwordx2 v[8:9], v51, s[8:9]
	v_mov_b32_e32 v1, s11
	s_waitcnt vmcnt(2)
	v_add_co_u32_e32 v3, vcc, 1, v4
	v_addc_co_u32_e32 v10, vcc, 0, v5, vcc
	v_add_co_u32_e32 v0, vcc, s10, v3
	v_addc_co_u32_e32 v1, vcc, v10, v1, vcc
	v_cmp_eq_u64_e32 vcc, 0, v[0:1]
	v_cndmask_b32_e32 v1, v1, v10, vcc
	v_cndmask_b32_e32 v0, v0, v3, vcc
	v_and_b32_e32 v3, v1, v5
	v_and_b32_e32 v4, v0, v4
	v_mul_lo_u32 v3, v3, 24
	v_mul_hi_u32 v5, v4, 24
	v_mul_lo_u32 v4, v4, 24
	v_add_u32_e32 v3, v5, v3
	s_waitcnt vmcnt(0)
	v_add_co_u32_e32 v4, vcc, v8, v4
	v_addc_co_u32_e32 v5, vcc, v9, v3, vcc
	v_mov_b32_e32 v2, v6
	global_store_dwordx2 v[4:5], v[6:7], off
	v_mov_b32_e32 v3, v7
	buffer_wbl2
	s_waitcnt vmcnt(0)
	global_atomic_cmpswap_x2 v[2:3], v51, v[0:3], s[8:9] offset:24 glc
	s_waitcnt vmcnt(0)
	v_cmp_ne_u64_e32 vcc, v[2:3], v[6:7]
	s_and_b64 exec, exec, vcc
	s_cbranch_execz .LBB3_450
; %bb.448:                              ;   in Loop: Header=BB3_3 Depth=1
	s_mov_b64 s[4:5], 0
.LBB3_449:                              ;   Parent Loop BB3_3 Depth=1
                                        ; =>  This Inner Loop Header: Depth=2
	s_sleep 1
	global_store_dwordx2 v[4:5], v[2:3], off
	buffer_wbl2
	s_waitcnt vmcnt(0)
	global_atomic_cmpswap_x2 v[6:7], v51, v[0:3], s[8:9] offset:24 glc
	s_waitcnt vmcnt(0)
	v_cmp_eq_u64_e32 vcc, v[6:7], v[2:3]
	s_or_b64 s[4:5], vcc, s[4:5]
	v_pk_mov_b32 v[2:3], v[6:7], v[6:7] op_sel:[0,1]
	s_andn2_b64 exec, exec, s[4:5]
	s_cbranch_execnz .LBB3_449
.LBB3_450:                              ;   in Loop: Header=BB3_3 Depth=1
	s_or_b64 exec, exec, s[12:13]
	v_readfirstlane_b32 s4, v57
	v_cmp_eq_u32_e64 s[4:5], s4, v57
	v_pk_mov_b32 v[4:5], 0, 0
	s_and_saveexec_b64 s[10:11], s[4:5]
	s_cbranch_execz .LBB3_456
; %bb.451:                              ;   in Loop: Header=BB3_3 Depth=1
	global_load_dwordx2 v[2:3], v51, s[8:9] offset:24 glc
	s_waitcnt vmcnt(0)
	buffer_invl2
	buffer_wbinvl1_vol
	global_load_dwordx2 v[0:1], v51, s[8:9] offset:40
	global_load_dwordx2 v[4:5], v51, s[8:9]
	s_waitcnt vmcnt(1)
	v_and_b32_e32 v0, v0, v2
	v_and_b32_e32 v1, v1, v3
	v_mul_lo_u32 v1, v1, 24
	v_mul_hi_u32 v6, v0, 24
	v_mul_lo_u32 v0, v0, 24
	v_add_u32_e32 v1, v6, v1
	s_waitcnt vmcnt(0)
	v_add_co_u32_e32 v0, vcc, v4, v0
	v_addc_co_u32_e32 v1, vcc, v5, v1, vcc
	global_load_dwordx2 v[0:1], v[0:1], off glc
	s_waitcnt vmcnt(0)
	global_atomic_cmpswap_x2 v[4:5], v51, v[0:3], s[8:9] offset:24 glc
	s_waitcnt vmcnt(0)
	buffer_invl2
	buffer_wbinvl1_vol
	v_cmp_ne_u64_e32 vcc, v[4:5], v[2:3]
	s_and_saveexec_b64 s[12:13], vcc
	s_cbranch_execz .LBB3_455
; %bb.452:                              ;   in Loop: Header=BB3_3 Depth=1
	s_mov_b64 s[14:15], 0
.LBB3_453:                              ;   Parent Loop BB3_3 Depth=1
                                        ; =>  This Inner Loop Header: Depth=2
	s_sleep 1
	global_load_dwordx2 v[0:1], v51, s[8:9] offset:40
	global_load_dwordx2 v[6:7], v51, s[8:9]
	v_pk_mov_b32 v[2:3], v[4:5], v[4:5] op_sel:[0,1]
	s_waitcnt vmcnt(1)
	v_and_b32_e32 v0, v0, v2
	v_and_b32_e32 v5, v1, v3
	s_waitcnt vmcnt(0)
	v_mad_u64_u32 v[0:1], s[16:17], v0, 24, v[6:7]
	v_mov_b32_e32 v4, v1
	v_mad_u64_u32 v[4:5], s[16:17], v5, 24, v[4:5]
	v_mov_b32_e32 v1, v4
	global_load_dwordx2 v[0:1], v[0:1], off glc
	s_waitcnt vmcnt(0)
	global_atomic_cmpswap_x2 v[4:5], v51, v[0:3], s[8:9] offset:24 glc
	s_waitcnt vmcnt(0)
	buffer_invl2
	buffer_wbinvl1_vol
	v_cmp_eq_u64_e32 vcc, v[4:5], v[2:3]
	s_or_b64 s[14:15], vcc, s[14:15]
	s_andn2_b64 exec, exec, s[14:15]
	s_cbranch_execnz .LBB3_453
; %bb.454:                              ;   in Loop: Header=BB3_3 Depth=1
	s_or_b64 exec, exec, s[14:15]
.LBB3_455:                              ;   in Loop: Header=BB3_3 Depth=1
	s_or_b64 exec, exec, s[12:13]
.LBB3_456:                              ;   in Loop: Header=BB3_3 Depth=1
	s_or_b64 exec, exec, s[10:11]
	global_load_dwordx2 v[6:7], v51, s[8:9] offset:40
	global_load_dwordx4 v[0:3], v51, s[8:9]
	v_readfirstlane_b32 s10, v4
	v_readfirstlane_b32 s11, v5
	s_mov_b64 s[12:13], exec
	s_waitcnt vmcnt(1)
	v_readfirstlane_b32 s14, v6
	v_readfirstlane_b32 s15, v7
	s_and_b64 s[14:15], s[10:11], s[14:15]
	s_mul_i32 s16, s15, 24
	s_mul_hi_u32 s17, s14, 24
	s_mul_i32 s20, s14, 24
	s_add_i32 s16, s17, s16
	v_mov_b32_e32 v5, s16
	s_waitcnt vmcnt(0)
	v_add_co_u32_e32 v4, vcc, s20, v0
	v_addc_co_u32_e32 v5, vcc, v1, v5, vcc
	s_and_saveexec_b64 s[16:17], s[4:5]
	s_cbranch_execz .LBB3_458
; %bb.457:                              ;   in Loop: Header=BB3_3 Depth=1
	v_pk_mov_b32 v[40:41], s[12:13], s[12:13] op_sel:[0,1]
	global_store_dwordx4 v[4:5], v[40:43], off offset:8
.LBB3_458:                              ;   in Loop: Header=BB3_3 Depth=1
	s_or_b64 exec, exec, s[16:17]
	s_lshl_b64 s[12:13], s[14:15], 12
	v_mov_b32_e32 v7, s13
	v_add_co_u32_e32 v6, vcc, s12, v2
	s_mov_b32 s29, s28
	v_addc_co_u32_e32 v7, vcc, v3, v7, vcc
	s_mov_b32 s30, s28
	s_mov_b32 s31, s28
	v_pk_mov_b32 v[8:9], s[28:29], s[28:29] op_sel:[0,1]
	v_and_or_b32 v52, v52, s71, 32
	v_readfirstlane_b32 s12, v6
	v_readfirstlane_b32 s13, v7
	v_pk_mov_b32 v[10:11], s[30:31], s[30:31] op_sel:[0,1]
	s_nop 3
	global_store_dwordx4 v27, v[52:55], s[12:13]
	global_store_dwordx4 v27, v[8:11], s[12:13] offset:16
	global_store_dwordx4 v27, v[8:11], s[12:13] offset:32
	;; [unrolled: 1-line block ×3, first 2 shown]
	s_and_saveexec_b64 s[12:13], s[4:5]
	s_cbranch_execz .LBB3_466
; %bb.459:                              ;   in Loop: Header=BB3_3 Depth=1
	global_load_dwordx2 v[12:13], v51, s[8:9] offset:32 glc
	global_load_dwordx2 v[2:3], v51, s[8:9] offset:40
	v_mov_b32_e32 v10, s10
	v_mov_b32_e32 v11, s11
	s_waitcnt vmcnt(0)
	v_readfirstlane_b32 s14, v2
	v_readfirstlane_b32 s15, v3
	s_and_b64 s[14:15], s[14:15], s[10:11]
	s_mul_i32 s15, s15, 24
	s_mul_hi_u32 s16, s14, 24
	s_mul_i32 s14, s14, 24
	s_add_i32 s15, s16, s15
	v_mov_b32_e32 v2, s15
	v_add_co_u32_e32 v8, vcc, s14, v0
	v_addc_co_u32_e32 v9, vcc, v1, v2, vcc
	global_store_dwordx2 v[8:9], v[12:13], off
	buffer_wbl2
	s_waitcnt vmcnt(0)
	global_atomic_cmpswap_x2 v[2:3], v51, v[10:13], s[8:9] offset:32 glc
	s_waitcnt vmcnt(0)
	v_cmp_ne_u64_e32 vcc, v[2:3], v[12:13]
	s_and_saveexec_b64 s[14:15], vcc
	s_cbranch_execz .LBB3_462
; %bb.460:                              ;   in Loop: Header=BB3_3 Depth=1
	s_mov_b64 s[16:17], 0
.LBB3_461:                              ;   Parent Loop BB3_3 Depth=1
                                        ; =>  This Inner Loop Header: Depth=2
	s_sleep 1
	global_store_dwordx2 v[8:9], v[2:3], off
	v_mov_b32_e32 v0, s10
	v_mov_b32_e32 v1, s11
	buffer_wbl2
	s_waitcnt vmcnt(0)
	global_atomic_cmpswap_x2 v[0:1], v51, v[0:3], s[8:9] offset:32 glc
	s_waitcnt vmcnt(0)
	v_cmp_eq_u64_e32 vcc, v[0:1], v[2:3]
	s_or_b64 s[16:17], vcc, s[16:17]
	v_pk_mov_b32 v[2:3], v[0:1], v[0:1] op_sel:[0,1]
	s_andn2_b64 exec, exec, s[16:17]
	s_cbranch_execnz .LBB3_461
.LBB3_462:                              ;   in Loop: Header=BB3_3 Depth=1
	s_or_b64 exec, exec, s[14:15]
	global_load_dwordx2 v[0:1], v51, s[8:9] offset:16
	s_mov_b64 s[16:17], exec
	v_mbcnt_lo_u32_b32 v2, s16, 0
	v_mbcnt_hi_u32_b32 v2, s17, v2
	v_cmp_eq_u32_e32 vcc, 0, v2
	s_and_saveexec_b64 s[14:15], vcc
	s_cbranch_execz .LBB3_464
; %bb.463:                              ;   in Loop: Header=BB3_3 Depth=1
	s_bcnt1_i32_b64 s16, s[16:17]
	v_mov_b32_e32 v50, s16
	buffer_wbl2
	s_waitcnt vmcnt(0)
	global_atomic_add_x2 v[0:1], v[50:51], off offset:8
.LBB3_464:                              ;   in Loop: Header=BB3_3 Depth=1
	s_or_b64 exec, exec, s[14:15]
	s_waitcnt vmcnt(0)
	global_load_dwordx2 v[2:3], v[0:1], off offset:16
	s_waitcnt vmcnt(0)
	v_cmp_eq_u64_e32 vcc, 0, v[2:3]
	s_cbranch_vccnz .LBB3_466
; %bb.465:                              ;   in Loop: Header=BB3_3 Depth=1
	global_load_dword v50, v[0:1], off offset:24
	s_waitcnt vmcnt(0)
	v_and_b32_e32 v0, 0xffffff, v50
	v_readfirstlane_b32 m0, v0
	buffer_wbl2
	global_store_dwordx2 v[2:3], v[50:51], off
	s_sendmsg sendmsg(MSG_INTERRUPT)
.LBB3_466:                              ;   in Loop: Header=BB3_3 Depth=1
	s_or_b64 exec, exec, s[12:13]
	v_add_co_u32_e32 v0, vcc, v6, v27
	v_addc_co_u32_e32 v1, vcc, 0, v7, vcc
	s_branch .LBB3_470
.LBB3_467:                              ;   in Loop: Header=BB3_470 Depth=2
	s_or_b64 exec, exec, s[12:13]
	v_readfirstlane_b32 s12, v2
	s_cmp_eq_u32 s12, 0
	s_cbranch_scc1 .LBB3_469
; %bb.468:                              ;   in Loop: Header=BB3_470 Depth=2
	s_sleep 1
	s_cbranch_execnz .LBB3_470
	s_branch .LBB3_472
.LBB3_469:                              ;   in Loop: Header=BB3_3 Depth=1
	s_branch .LBB3_472
.LBB3_470:                              ;   Parent Loop BB3_3 Depth=1
                                        ; =>  This Inner Loop Header: Depth=2
	v_mov_b32_e32 v2, 1
	s_and_saveexec_b64 s[12:13], s[4:5]
	s_cbranch_execz .LBB3_467
; %bb.471:                              ;   in Loop: Header=BB3_470 Depth=2
	global_load_dword v2, v[4:5], off offset:20 glc
	s_waitcnt vmcnt(0)
	buffer_invl2
	buffer_wbinvl1_vol
	v_and_b32_e32 v2, 1, v2
	s_branch .LBB3_467
.LBB3_472:                              ;   in Loop: Header=BB3_3 Depth=1
	global_load_dwordx2 v[0:1], v[0:1], off
	s_and_saveexec_b64 s[12:13], s[4:5]
	s_cbranch_execz .LBB3_476
; %bb.473:                              ;   in Loop: Header=BB3_3 Depth=1
	global_load_dwordx2 v[6:7], v51, s[8:9] offset:40
	global_load_dwordx2 v[8:9], v51, s[8:9] offset:24 glc
	global_load_dwordx2 v[10:11], v51, s[8:9]
	v_mov_b32_e32 v3, s11
	s_waitcnt vmcnt(2)
	v_add_co_u32_e32 v5, vcc, 1, v6
	v_addc_co_u32_e32 v12, vcc, 0, v7, vcc
	v_add_co_u32_e32 v2, vcc, s10, v5
	v_addc_co_u32_e32 v3, vcc, v12, v3, vcc
	v_cmp_eq_u64_e32 vcc, 0, v[2:3]
	v_cndmask_b32_e32 v3, v3, v12, vcc
	v_cndmask_b32_e32 v2, v2, v5, vcc
	v_and_b32_e32 v5, v3, v7
	v_and_b32_e32 v6, v2, v6
	v_mul_lo_u32 v5, v5, 24
	v_mul_hi_u32 v7, v6, 24
	v_mul_lo_u32 v6, v6, 24
	v_add_u32_e32 v5, v7, v5
	s_waitcnt vmcnt(0)
	v_add_co_u32_e32 v6, vcc, v10, v6
	v_addc_co_u32_e32 v7, vcc, v11, v5, vcc
	v_mov_b32_e32 v4, v8
	global_store_dwordx2 v[6:7], v[8:9], off
	v_mov_b32_e32 v5, v9
	buffer_wbl2
	s_waitcnt vmcnt(0)
	global_atomic_cmpswap_x2 v[4:5], v51, v[2:5], s[8:9] offset:24 glc
	s_waitcnt vmcnt(0)
	v_cmp_ne_u64_e32 vcc, v[4:5], v[8:9]
	s_and_b64 exec, exec, vcc
	s_cbranch_execz .LBB3_476
; %bb.474:                              ;   in Loop: Header=BB3_3 Depth=1
	s_mov_b64 s[4:5], 0
.LBB3_475:                              ;   Parent Loop BB3_3 Depth=1
                                        ; =>  This Inner Loop Header: Depth=2
	s_sleep 1
	global_store_dwordx2 v[6:7], v[4:5], off
	buffer_wbl2
	s_waitcnt vmcnt(0)
	global_atomic_cmpswap_x2 v[8:9], v51, v[2:5], s[8:9] offset:24 glc
	s_waitcnt vmcnt(0)
	v_cmp_eq_u64_e32 vcc, v[8:9], v[4:5]
	s_or_b64 s[4:5], vcc, s[4:5]
	v_pk_mov_b32 v[4:5], v[8:9], v[8:9] op_sel:[0,1]
	s_andn2_b64 exec, exec, s[4:5]
	s_cbranch_execnz .LBB3_475
.LBB3_476:                              ;   in Loop: Header=BB3_3 Depth=1
	s_or_b64 exec, exec, s[12:13]
	v_readfirstlane_b32 s4, v57
	v_cmp_eq_u32_e64 s[4:5], s4, v57
	v_pk_mov_b32 v[2:3], 0, 0
	s_and_saveexec_b64 s[10:11], s[4:5]
	s_cbranch_execz .LBB3_482
; %bb.477:                              ;   in Loop: Header=BB3_3 Depth=1
	global_load_dwordx2 v[4:5], v51, s[8:9] offset:24 glc
	s_waitcnt vmcnt(0)
	buffer_invl2
	buffer_wbinvl1_vol
	global_load_dwordx2 v[2:3], v51, s[8:9] offset:40
	global_load_dwordx2 v[6:7], v51, s[8:9]
	s_waitcnt vmcnt(1)
	v_and_b32_e32 v2, v2, v4
	v_and_b32_e32 v3, v3, v5
	v_mul_lo_u32 v3, v3, 24
	v_mul_hi_u32 v8, v2, 24
	v_mul_lo_u32 v2, v2, 24
	v_add_u32_e32 v3, v8, v3
	s_waitcnt vmcnt(0)
	v_add_co_u32_e32 v2, vcc, v6, v2
	v_addc_co_u32_e32 v3, vcc, v7, v3, vcc
	global_load_dwordx2 v[2:3], v[2:3], off glc
	s_waitcnt vmcnt(0)
	global_atomic_cmpswap_x2 v[2:3], v51, v[2:5], s[8:9] offset:24 glc
	s_waitcnt vmcnt(0)
	buffer_invl2
	buffer_wbinvl1_vol
	v_cmp_ne_u64_e32 vcc, v[2:3], v[4:5]
	s_and_saveexec_b64 s[12:13], vcc
	s_cbranch_execz .LBB3_481
; %bb.478:                              ;   in Loop: Header=BB3_3 Depth=1
	s_mov_b64 s[14:15], 0
.LBB3_479:                              ;   Parent Loop BB3_3 Depth=1
                                        ; =>  This Inner Loop Header: Depth=2
	s_sleep 1
	global_load_dwordx2 v[6:7], v51, s[8:9] offset:40
	global_load_dwordx2 v[8:9], v51, s[8:9]
	v_pk_mov_b32 v[4:5], v[2:3], v[2:3] op_sel:[0,1]
	s_waitcnt vmcnt(1)
	v_and_b32_e32 v2, v6, v4
	s_waitcnt vmcnt(0)
	v_mad_u64_u32 v[2:3], s[16:17], v2, 24, v[8:9]
	v_and_b32_e32 v7, v7, v5
	v_mov_b32_e32 v6, v3
	v_mad_u64_u32 v[6:7], s[16:17], v7, 24, v[6:7]
	v_mov_b32_e32 v3, v6
	global_load_dwordx2 v[2:3], v[2:3], off glc
	s_waitcnt vmcnt(0)
	global_atomic_cmpswap_x2 v[2:3], v51, v[2:5], s[8:9] offset:24 glc
	s_waitcnt vmcnt(0)
	buffer_invl2
	buffer_wbinvl1_vol
	v_cmp_eq_u64_e32 vcc, v[2:3], v[4:5]
	s_or_b64 s[14:15], vcc, s[14:15]
	s_andn2_b64 exec, exec, s[14:15]
	s_cbranch_execnz .LBB3_479
; %bb.480:                              ;   in Loop: Header=BB3_3 Depth=1
	s_or_b64 exec, exec, s[14:15]
.LBB3_481:                              ;   in Loop: Header=BB3_3 Depth=1
	s_or_b64 exec, exec, s[12:13]
.LBB3_482:                              ;   in Loop: Header=BB3_3 Depth=1
	s_or_b64 exec, exec, s[10:11]
	global_load_dwordx2 v[8:9], v51, s[8:9] offset:40
	global_load_dwordx4 v[4:7], v51, s[8:9]
	v_readfirstlane_b32 s10, v2
	v_readfirstlane_b32 s11, v3
	s_mov_b64 s[14:15], exec
	s_waitcnt vmcnt(1)
	v_readfirstlane_b32 s12, v8
	v_readfirstlane_b32 s13, v9
	s_and_b64 s[12:13], s[10:11], s[12:13]
	s_mul_i32 s16, s13, 24
	s_mul_hi_u32 s17, s12, 24
	s_mul_i32 s20, s12, 24
	s_add_i32 s16, s17, s16
	v_mov_b32_e32 v2, s16
	s_waitcnt vmcnt(0)
	v_add_co_u32_e32 v8, vcc, s20, v4
	v_addc_co_u32_e32 v9, vcc, v5, v2, vcc
	s_and_saveexec_b64 s[16:17], s[4:5]
	s_cbranch_execz .LBB3_484
; %bb.483:                              ;   in Loop: Header=BB3_3 Depth=1
	v_pk_mov_b32 v[40:41], s[14:15], s[14:15] op_sel:[0,1]
	global_store_dwordx4 v[8:9], v[40:43], off offset:8
.LBB3_484:                              ;   in Loop: Header=BB3_3 Depth=1
	s_or_b64 exec, exec, s[16:17]
	v_mul_lo_u32 v10, v28, v26
	v_cvt_f32_u32_e32 v2, v10
	s_lshl_b64 s[12:13], s[12:13], 12
	v_mov_b32_e32 v11, s13
	s_mov_b32 s29, s28
	v_rcp_iflag_f32_e32 v3, v2
	v_mul_lo_u32 v2, v26, v26
	s_mov_b32 s30, s28
	s_mov_b32 s31, s28
	v_mul_f32_e32 v3, 0x4f7ffffe, v3
	v_cvt_u32_f32_e32 v12, v3
	v_mad_u64_u32 v[2:3], s[14:15], v28, v28, v[2:3]
	v_sub_u32_e32 v3, 0, v10
	v_mul_lo_u32 v3, v3, v12
	v_mul_hi_u32 v3, v12, v3
	v_add_u32_e32 v3, v12, v3
	v_mul_hi_u32 v3, v2, v3
	v_mul_lo_u32 v12, v3, v10
	v_sub_u32_e32 v2, v2, v12
	v_add_u32_e32 v13, 1, v3
	v_cmp_ge_u32_e32 vcc, v2, v10
	v_sub_u32_e32 v12, v2, v10
	v_cndmask_b32_e32 v3, v3, v13, vcc
	v_cndmask_b32_e32 v2, v2, v12, vcc
	v_add_u32_e32 v12, 1, v3
	v_cmp_ge_u32_e32 vcc, v2, v10
	v_cndmask_b32_e32 v2, v3, v12, vcc
	v_cvt_f32_u32_e32 v2, v2
	v_add_co_u32_e32 v10, vcc, s12, v6
	v_addc_co_u32_e32 v11, vcc, v7, v11, vcc
	v_pk_mov_b32 v[12:13], s[28:29], s[28:29] op_sel:[0,1]
	v_and_or_b32 v0, v0, s71, 32
	v_cvt_f64_f32_e32 v[2:3], v2
	v_readfirstlane_b32 s12, v10
	v_readfirstlane_b32 s13, v11
	v_pk_mov_b32 v[14:15], s[30:31], s[30:31] op_sel:[0,1]
	s_nop 3
	global_store_dwordx4 v27, v[0:3], s[12:13]
	global_store_dwordx4 v27, v[12:15], s[12:13] offset:16
	global_store_dwordx4 v27, v[12:15], s[12:13] offset:32
	;; [unrolled: 1-line block ×3, first 2 shown]
	s_and_saveexec_b64 s[12:13], s[4:5]
	s_cbranch_execz .LBB3_492
; %bb.485:                              ;   in Loop: Header=BB3_3 Depth=1
	global_load_dwordx2 v[14:15], v51, s[8:9] offset:32 glc
	global_load_dwordx2 v[0:1], v51, s[8:9] offset:40
	v_mov_b32_e32 v12, s10
	v_mov_b32_e32 v13, s11
	s_waitcnt vmcnt(0)
	v_readfirstlane_b32 s14, v0
	v_readfirstlane_b32 s15, v1
	s_and_b64 s[14:15], s[14:15], s[10:11]
	s_mul_i32 s15, s15, 24
	s_mul_hi_u32 s16, s14, 24
	s_mul_i32 s14, s14, 24
	s_add_i32 s15, s16, s15
	v_mov_b32_e32 v1, s15
	v_add_co_u32_e32 v0, vcc, s14, v4
	v_addc_co_u32_e32 v1, vcc, v5, v1, vcc
	global_store_dwordx2 v[0:1], v[14:15], off
	buffer_wbl2
	s_waitcnt vmcnt(0)
	global_atomic_cmpswap_x2 v[6:7], v51, v[12:15], s[8:9] offset:32 glc
	s_waitcnt vmcnt(0)
	v_cmp_ne_u64_e32 vcc, v[6:7], v[14:15]
	s_and_saveexec_b64 s[14:15], vcc
	s_cbranch_execz .LBB3_488
; %bb.486:                              ;   in Loop: Header=BB3_3 Depth=1
	s_mov_b64 s[16:17], 0
.LBB3_487:                              ;   Parent Loop BB3_3 Depth=1
                                        ; =>  This Inner Loop Header: Depth=2
	s_sleep 1
	global_store_dwordx2 v[0:1], v[6:7], off
	v_mov_b32_e32 v4, s10
	v_mov_b32_e32 v5, s11
	buffer_wbl2
	s_waitcnt vmcnt(0)
	global_atomic_cmpswap_x2 v[4:5], v51, v[4:7], s[8:9] offset:32 glc
	s_waitcnt vmcnt(0)
	v_cmp_eq_u64_e32 vcc, v[4:5], v[6:7]
	s_or_b64 s[16:17], vcc, s[16:17]
	v_pk_mov_b32 v[6:7], v[4:5], v[4:5] op_sel:[0,1]
	s_andn2_b64 exec, exec, s[16:17]
	s_cbranch_execnz .LBB3_487
.LBB3_488:                              ;   in Loop: Header=BB3_3 Depth=1
	s_or_b64 exec, exec, s[14:15]
	global_load_dwordx2 v[0:1], v51, s[8:9] offset:16
	s_mov_b64 s[16:17], exec
	v_mbcnt_lo_u32_b32 v4, s16, 0
	v_mbcnt_hi_u32_b32 v4, s17, v4
	v_cmp_eq_u32_e32 vcc, 0, v4
	s_and_saveexec_b64 s[14:15], vcc
	s_cbranch_execz .LBB3_490
; %bb.489:                              ;   in Loop: Header=BB3_3 Depth=1
	s_bcnt1_i32_b64 s16, s[16:17]
	v_mov_b32_e32 v50, s16
	buffer_wbl2
	s_waitcnt vmcnt(0)
	global_atomic_add_x2 v[0:1], v[50:51], off offset:8
.LBB3_490:                              ;   in Loop: Header=BB3_3 Depth=1
	s_or_b64 exec, exec, s[14:15]
	s_waitcnt vmcnt(0)
	global_load_dwordx2 v[4:5], v[0:1], off offset:16
	s_waitcnt vmcnt(0)
	v_cmp_eq_u64_e32 vcc, 0, v[4:5]
	s_cbranch_vccnz .LBB3_492
; %bb.491:                              ;   in Loop: Header=BB3_3 Depth=1
	global_load_dword v50, v[0:1], off offset:24
	s_waitcnt vmcnt(0)
	v_and_b32_e32 v0, 0xffffff, v50
	v_readfirstlane_b32 m0, v0
	buffer_wbl2
	global_store_dwordx2 v[4:5], v[50:51], off
	s_sendmsg sendmsg(MSG_INTERRUPT)
.LBB3_492:                              ;   in Loop: Header=BB3_3 Depth=1
	s_or_b64 exec, exec, s[12:13]
	v_add_co_u32_e32 v0, vcc, v10, v27
	v_addc_co_u32_e32 v1, vcc, 0, v11, vcc
	s_branch .LBB3_496
.LBB3_493:                              ;   in Loop: Header=BB3_496 Depth=2
	s_or_b64 exec, exec, s[12:13]
	v_readfirstlane_b32 s12, v4
	s_cmp_eq_u32 s12, 0
	s_cbranch_scc1 .LBB3_495
; %bb.494:                              ;   in Loop: Header=BB3_496 Depth=2
	s_sleep 1
	s_cbranch_execnz .LBB3_496
	s_branch .LBB3_498
.LBB3_495:                              ;   in Loop: Header=BB3_3 Depth=1
	s_branch .LBB3_498
.LBB3_496:                              ;   Parent Loop BB3_3 Depth=1
                                        ; =>  This Inner Loop Header: Depth=2
	v_mov_b32_e32 v4, 1
	s_and_saveexec_b64 s[12:13], s[4:5]
	s_cbranch_execz .LBB3_493
; %bb.497:                              ;   in Loop: Header=BB3_496 Depth=2
	global_load_dword v4, v[8:9], off offset:20 glc
	s_waitcnt vmcnt(0)
	buffer_invl2
	buffer_wbinvl1_vol
	v_and_b32_e32 v4, 1, v4
	s_branch .LBB3_493
.LBB3_498:                              ;   in Loop: Header=BB3_3 Depth=1
	global_load_dwordx2 v[0:1], v[0:1], off
	s_and_saveexec_b64 s[12:13], s[4:5]
	s_cbranch_execz .LBB3_502
; %bb.499:                              ;   in Loop: Header=BB3_3 Depth=1
	global_load_dwordx2 v[8:9], v51, s[8:9] offset:40
	global_load_dwordx2 v[10:11], v51, s[8:9] offset:24 glc
	global_load_dwordx2 v[12:13], v51, s[8:9]
	v_mov_b32_e32 v5, s11
	s_waitcnt vmcnt(2)
	v_add_co_u32_e32 v7, vcc, 1, v8
	v_addc_co_u32_e32 v14, vcc, 0, v9, vcc
	v_add_co_u32_e32 v4, vcc, s10, v7
	v_addc_co_u32_e32 v5, vcc, v14, v5, vcc
	v_cmp_eq_u64_e32 vcc, 0, v[4:5]
	v_cndmask_b32_e32 v5, v5, v14, vcc
	v_cndmask_b32_e32 v4, v4, v7, vcc
	v_and_b32_e32 v7, v5, v9
	v_and_b32_e32 v8, v4, v8
	v_mul_lo_u32 v7, v7, 24
	v_mul_hi_u32 v9, v8, 24
	v_mul_lo_u32 v8, v8, 24
	v_add_u32_e32 v7, v9, v7
	s_waitcnt vmcnt(0)
	v_add_co_u32_e32 v8, vcc, v12, v8
	v_addc_co_u32_e32 v9, vcc, v13, v7, vcc
	v_mov_b32_e32 v6, v10
	global_store_dwordx2 v[8:9], v[10:11], off
	v_mov_b32_e32 v7, v11
	buffer_wbl2
	s_waitcnt vmcnt(0)
	global_atomic_cmpswap_x2 v[6:7], v51, v[4:7], s[8:9] offset:24 glc
	s_waitcnt vmcnt(0)
	v_cmp_ne_u64_e32 vcc, v[6:7], v[10:11]
	s_and_b64 exec, exec, vcc
	s_cbranch_execz .LBB3_502
; %bb.500:                              ;   in Loop: Header=BB3_3 Depth=1
	s_mov_b64 s[4:5], 0
.LBB3_501:                              ;   Parent Loop BB3_3 Depth=1
                                        ; =>  This Inner Loop Header: Depth=2
	s_sleep 1
	global_store_dwordx2 v[8:9], v[6:7], off
	buffer_wbl2
	s_waitcnt vmcnt(0)
	global_atomic_cmpswap_x2 v[10:11], v51, v[4:7], s[8:9] offset:24 glc
	s_waitcnt vmcnt(0)
	v_cmp_eq_u64_e32 vcc, v[10:11], v[6:7]
	s_or_b64 s[4:5], vcc, s[4:5]
	v_pk_mov_b32 v[6:7], v[10:11], v[10:11] op_sel:[0,1]
	s_andn2_b64 exec, exec, s[4:5]
	s_cbranch_execnz .LBB3_501
.LBB3_502:                              ;   in Loop: Header=BB3_3 Depth=1
	s_or_b64 exec, exec, s[12:13]
	v_readfirstlane_b32 s4, v57
	v_cmp_eq_u32_e64 s[4:5], s4, v57
	v_pk_mov_b32 v[8:9], 0, 0
	s_and_saveexec_b64 s[10:11], s[4:5]
	s_cbranch_execz .LBB3_508
; %bb.503:                              ;   in Loop: Header=BB3_3 Depth=1
	global_load_dwordx2 v[6:7], v51, s[8:9] offset:24 glc
	s_waitcnt vmcnt(0)
	buffer_invl2
	buffer_wbinvl1_vol
	global_load_dwordx2 v[4:5], v51, s[8:9] offset:40
	global_load_dwordx2 v[8:9], v51, s[8:9]
	s_waitcnt vmcnt(1)
	v_and_b32_e32 v4, v4, v6
	v_and_b32_e32 v5, v5, v7
	v_mul_lo_u32 v5, v5, 24
	v_mul_hi_u32 v10, v4, 24
	v_mul_lo_u32 v4, v4, 24
	v_add_u32_e32 v5, v10, v5
	s_waitcnt vmcnt(0)
	v_add_co_u32_e32 v4, vcc, v8, v4
	v_addc_co_u32_e32 v5, vcc, v9, v5, vcc
	global_load_dwordx2 v[4:5], v[4:5], off glc
	s_waitcnt vmcnt(0)
	global_atomic_cmpswap_x2 v[8:9], v51, v[4:7], s[8:9] offset:24 glc
	s_waitcnt vmcnt(0)
	buffer_invl2
	buffer_wbinvl1_vol
	v_cmp_ne_u64_e32 vcc, v[8:9], v[6:7]
	s_and_saveexec_b64 s[12:13], vcc
	s_cbranch_execz .LBB3_507
; %bb.504:                              ;   in Loop: Header=BB3_3 Depth=1
	s_mov_b64 s[14:15], 0
.LBB3_505:                              ;   Parent Loop BB3_3 Depth=1
                                        ; =>  This Inner Loop Header: Depth=2
	s_sleep 1
	global_load_dwordx2 v[4:5], v51, s[8:9] offset:40
	global_load_dwordx2 v[10:11], v51, s[8:9]
	v_pk_mov_b32 v[6:7], v[8:9], v[8:9] op_sel:[0,1]
	s_waitcnt vmcnt(1)
	v_and_b32_e32 v4, v4, v6
	v_and_b32_e32 v9, v5, v7
	s_waitcnt vmcnt(0)
	v_mad_u64_u32 v[4:5], s[16:17], v4, 24, v[10:11]
	v_mov_b32_e32 v8, v5
	v_mad_u64_u32 v[8:9], s[16:17], v9, 24, v[8:9]
	v_mov_b32_e32 v5, v8
	global_load_dwordx2 v[4:5], v[4:5], off glc
	s_waitcnt vmcnt(0)
	global_atomic_cmpswap_x2 v[8:9], v51, v[4:7], s[8:9] offset:24 glc
	s_waitcnt vmcnt(0)
	buffer_invl2
	buffer_wbinvl1_vol
	v_cmp_eq_u64_e32 vcc, v[8:9], v[6:7]
	s_or_b64 s[14:15], vcc, s[14:15]
	s_andn2_b64 exec, exec, s[14:15]
	s_cbranch_execnz .LBB3_505
; %bb.506:                              ;   in Loop: Header=BB3_3 Depth=1
	s_or_b64 exec, exec, s[14:15]
.LBB3_507:                              ;   in Loop: Header=BB3_3 Depth=1
	s_or_b64 exec, exec, s[12:13]
.LBB3_508:                              ;   in Loop: Header=BB3_3 Depth=1
	s_or_b64 exec, exec, s[10:11]
	global_load_dwordx2 v[10:11], v51, s[8:9] offset:40
	global_load_dwordx4 v[4:7], v51, s[8:9]
	v_readfirstlane_b32 s10, v8
	v_readfirstlane_b32 s11, v9
	s_mov_b64 s[12:13], exec
	s_waitcnt vmcnt(1)
	v_readfirstlane_b32 s14, v10
	v_readfirstlane_b32 s15, v11
	s_and_b64 s[14:15], s[10:11], s[14:15]
	s_mul_i32 s16, s15, 24
	s_mul_hi_u32 s17, s14, 24
	s_mul_i32 s20, s14, 24
	s_add_i32 s16, s17, s16
	v_mov_b32_e32 v9, s16
	s_waitcnt vmcnt(0)
	v_add_co_u32_e32 v8, vcc, s20, v4
	v_addc_co_u32_e32 v9, vcc, v5, v9, vcc
	s_and_saveexec_b64 s[16:17], s[4:5]
	s_cbranch_execz .LBB3_510
; %bb.509:                              ;   in Loop: Header=BB3_3 Depth=1
	v_pk_mov_b32 v[40:41], s[12:13], s[12:13] op_sel:[0,1]
	global_store_dwordx4 v[8:9], v[40:43], off offset:8
.LBB3_510:                              ;   in Loop: Header=BB3_3 Depth=1
	s_or_b64 exec, exec, s[16:17]
	s_lshl_b64 s[12:13], s[14:15], 12
	v_mov_b32_e32 v10, s13
	v_add_co_u32_e32 v6, vcc, s12, v6
	v_addc_co_u32_e32 v7, vcc, v7, v10, vcc
	v_and_or_b32 v0, v0, s72, 34
	v_readfirstlane_b32 s12, v6
	v_readfirstlane_b32 s13, v7
	s_mov_b32 s29, s28
	s_mov_b32 s30, s28
	;; [unrolled: 1-line block ×3, first 2 shown]
	s_nop 1
	global_store_dwordx4 v27, v[0:3], s[12:13]
	s_nop 0
	v_pk_mov_b32 v[0:1], s[28:29], s[28:29] op_sel:[0,1]
	v_pk_mov_b32 v[2:3], s[30:31], s[30:31] op_sel:[0,1]
	global_store_dwordx4 v27, v[0:3], s[12:13] offset:16
	global_store_dwordx4 v27, v[0:3], s[12:13] offset:32
	;; [unrolled: 1-line block ×3, first 2 shown]
	s_and_saveexec_b64 s[12:13], s[4:5]
	s_cbranch_execz .LBB3_518
; %bb.511:                              ;   in Loop: Header=BB3_3 Depth=1
	global_load_dwordx2 v[12:13], v51, s[8:9] offset:32 glc
	global_load_dwordx2 v[0:1], v51, s[8:9] offset:40
	v_mov_b32_e32 v10, s10
	v_mov_b32_e32 v11, s11
	s_waitcnt vmcnt(0)
	v_readfirstlane_b32 s14, v0
	v_readfirstlane_b32 s15, v1
	s_and_b64 s[14:15], s[14:15], s[10:11]
	s_mul_i32 s15, s15, 24
	s_mul_hi_u32 s16, s14, 24
	s_mul_i32 s14, s14, 24
	s_add_i32 s15, s16, s15
	v_mov_b32_e32 v0, s15
	v_add_co_u32_e32 v4, vcc, s14, v4
	v_addc_co_u32_e32 v5, vcc, v5, v0, vcc
	global_store_dwordx2 v[4:5], v[12:13], off
	buffer_wbl2
	s_waitcnt vmcnt(0)
	global_atomic_cmpswap_x2 v[2:3], v51, v[10:13], s[8:9] offset:32 glc
	s_waitcnt vmcnt(0)
	v_cmp_ne_u64_e32 vcc, v[2:3], v[12:13]
	s_and_saveexec_b64 s[14:15], vcc
	s_cbranch_execz .LBB3_514
; %bb.512:                              ;   in Loop: Header=BB3_3 Depth=1
	s_mov_b64 s[16:17], 0
.LBB3_513:                              ;   Parent Loop BB3_3 Depth=1
                                        ; =>  This Inner Loop Header: Depth=2
	s_sleep 1
	global_store_dwordx2 v[4:5], v[2:3], off
	v_mov_b32_e32 v0, s10
	v_mov_b32_e32 v1, s11
	buffer_wbl2
	s_waitcnt vmcnt(0)
	global_atomic_cmpswap_x2 v[0:1], v51, v[0:3], s[8:9] offset:32 glc
	s_waitcnt vmcnt(0)
	v_cmp_eq_u64_e32 vcc, v[0:1], v[2:3]
	s_or_b64 s[16:17], vcc, s[16:17]
	v_pk_mov_b32 v[2:3], v[0:1], v[0:1] op_sel:[0,1]
	s_andn2_b64 exec, exec, s[16:17]
	s_cbranch_execnz .LBB3_513
.LBB3_514:                              ;   in Loop: Header=BB3_3 Depth=1
	s_or_b64 exec, exec, s[14:15]
	global_load_dwordx2 v[0:1], v51, s[8:9] offset:16
	s_mov_b64 s[16:17], exec
	v_mbcnt_lo_u32_b32 v2, s16, 0
	v_mbcnt_hi_u32_b32 v2, s17, v2
	v_cmp_eq_u32_e32 vcc, 0, v2
	s_and_saveexec_b64 s[14:15], vcc
	s_cbranch_execz .LBB3_516
; %bb.515:                              ;   in Loop: Header=BB3_3 Depth=1
	s_bcnt1_i32_b64 s16, s[16:17]
	v_mov_b32_e32 v50, s16
	buffer_wbl2
	s_waitcnt vmcnt(0)
	global_atomic_add_x2 v[0:1], v[50:51], off offset:8
.LBB3_516:                              ;   in Loop: Header=BB3_3 Depth=1
	s_or_b64 exec, exec, s[14:15]
	s_waitcnt vmcnt(0)
	global_load_dwordx2 v[2:3], v[0:1], off offset:16
	s_waitcnt vmcnt(0)
	v_cmp_eq_u64_e32 vcc, 0, v[2:3]
	s_cbranch_vccnz .LBB3_518
; %bb.517:                              ;   in Loop: Header=BB3_3 Depth=1
	global_load_dword v50, v[0:1], off offset:24
	s_waitcnt vmcnt(0)
	v_and_b32_e32 v0, 0xffffff, v50
	v_readfirstlane_b32 m0, v0
	buffer_wbl2
	global_store_dwordx2 v[2:3], v[50:51], off
	s_sendmsg sendmsg(MSG_INTERRUPT)
.LBB3_518:                              ;   in Loop: Header=BB3_3 Depth=1
	s_or_b64 exec, exec, s[12:13]
	v_add_co_u32_e32 v0, vcc, v6, v27
	v_addc_co_u32_e32 v1, vcc, 0, v7, vcc
	s_branch .LBB3_522
.LBB3_519:                              ;   in Loop: Header=BB3_522 Depth=2
	s_or_b64 exec, exec, s[12:13]
	v_readfirstlane_b32 s12, v2
	s_cmp_eq_u32 s12, 0
	s_cbranch_scc1 .LBB3_521
; %bb.520:                              ;   in Loop: Header=BB3_522 Depth=2
	s_sleep 1
	s_cbranch_execnz .LBB3_522
	s_branch .LBB3_524
.LBB3_521:                              ;   in Loop: Header=BB3_3 Depth=1
	s_branch .LBB3_524
.LBB3_522:                              ;   Parent Loop BB3_3 Depth=1
                                        ; =>  This Inner Loop Header: Depth=2
	v_mov_b32_e32 v2, 1
	s_and_saveexec_b64 s[12:13], s[4:5]
	s_cbranch_execz .LBB3_519
; %bb.523:                              ;   in Loop: Header=BB3_522 Depth=2
	global_load_dword v2, v[8:9], off offset:20 glc
	s_waitcnt vmcnt(0)
	buffer_invl2
	buffer_wbinvl1_vol
	v_and_b32_e32 v2, 1, v2
	s_branch .LBB3_519
.LBB3_524:                              ;   in Loop: Header=BB3_3 Depth=1
	global_load_dwordx2 v[0:1], v[0:1], off
	s_and_saveexec_b64 s[12:13], s[4:5]
	s_cbranch_execz .LBB3_528
; %bb.525:                              ;   in Loop: Header=BB3_3 Depth=1
	global_load_dwordx2 v[6:7], v51, s[8:9] offset:40
	global_load_dwordx2 v[8:9], v51, s[8:9] offset:24 glc
	global_load_dwordx2 v[10:11], v51, s[8:9]
	s_waitcnt vmcnt(3)
	v_mov_b32_e32 v1, s11
	s_waitcnt vmcnt(2)
	v_add_co_u32_e32 v5, vcc, 1, v6
	v_addc_co_u32_e32 v12, vcc, 0, v7, vcc
	v_add_co_u32_e32 v2, vcc, s10, v5
	v_addc_co_u32_e32 v3, vcc, v12, v1, vcc
	v_cmp_eq_u64_e32 vcc, 0, v[2:3]
	v_cndmask_b32_e32 v3, v3, v12, vcc
	v_cndmask_b32_e32 v2, v2, v5, vcc
	v_and_b32_e32 v1, v3, v7
	v_and_b32_e32 v5, v2, v6
	v_mul_lo_u32 v1, v1, 24
	v_mul_hi_u32 v6, v5, 24
	v_mul_lo_u32 v5, v5, 24
	v_add_u32_e32 v1, v6, v1
	s_waitcnt vmcnt(0)
	v_add_co_u32_e32 v6, vcc, v10, v5
	v_addc_co_u32_e32 v7, vcc, v11, v1, vcc
	v_mov_b32_e32 v4, v8
	global_store_dwordx2 v[6:7], v[8:9], off
	v_mov_b32_e32 v5, v9
	buffer_wbl2
	s_waitcnt vmcnt(0)
	global_atomic_cmpswap_x2 v[4:5], v51, v[2:5], s[8:9] offset:24 glc
	s_waitcnt vmcnt(0)
	v_cmp_ne_u64_e32 vcc, v[4:5], v[8:9]
	s_and_b64 exec, exec, vcc
	s_cbranch_execz .LBB3_528
; %bb.526:                              ;   in Loop: Header=BB3_3 Depth=1
	s_mov_b64 s[4:5], 0
.LBB3_527:                              ;   Parent Loop BB3_3 Depth=1
                                        ; =>  This Inner Loop Header: Depth=2
	s_sleep 1
	global_store_dwordx2 v[6:7], v[4:5], off
	buffer_wbl2
	s_waitcnt vmcnt(0)
	global_atomic_cmpswap_x2 v[8:9], v51, v[2:5], s[8:9] offset:24 glc
	s_waitcnt vmcnt(0)
	v_cmp_eq_u64_e32 vcc, v[8:9], v[4:5]
	s_or_b64 s[4:5], vcc, s[4:5]
	v_pk_mov_b32 v[4:5], v[8:9], v[8:9] op_sel:[0,1]
	s_andn2_b64 exec, exec, s[4:5]
	s_cbranch_execnz .LBB3_527
.LBB3_528:                              ;   in Loop: Header=BB3_3 Depth=1
	s_or_b64 exec, exec, s[12:13]
.LBB3_529:                              ;   in Loop: Header=BB3_3 Depth=1
	s_or_b64 exec, exec, s[6:7]
                                        ; implicit-def: $vgpr26
.LBB3_530:                              ;   in Loop: Header=BB3_3 Depth=1
	s_andn2_saveexec_b64 s[6:7], s[18:19]
	s_cbranch_execz .LBB3_1546
; %bb.531:                              ;   in Loop: Header=BB3_3 Depth=1
	v_cmp_lt_i32_e32 vcc, 1, v56
                                        ; implicit-def: $vgpr0_vgpr1
	s_and_saveexec_b64 s[4:5], vcc
	s_xor_b64 s[8:9], exec, s[4:5]
	s_cbranch_execz .LBB3_909
; %bb.532:                              ;   in Loop: Header=BB3_3 Depth=1
	v_cmp_lt_i32_e32 vcc, 2, v56
                                        ; implicit-def: $vgpr0_vgpr1
	s_and_saveexec_b64 s[4:5], vcc
	s_xor_b64 s[10:11], exec, s[4:5]
	s_cbranch_execz .LBB3_885
; %bb.533:                              ;   in Loop: Header=BB3_3 Depth=1
	flat_load_dword v28, v[46:47]
	s_load_dwordx2 s[12:13], s[26:27], 0x50
	v_readfirstlane_b32 s4, v57
	v_cmp_eq_u32_e64 s[4:5], s4, v57
	v_pk_mov_b32 v[4:5], 0, 0
	s_and_saveexec_b64 s[14:15], s[4:5]
	s_cbranch_execz .LBB3_539
; %bb.534:                              ;   in Loop: Header=BB3_3 Depth=1
	s_waitcnt lgkmcnt(0)
	global_load_dwordx2 v[2:3], v51, s[12:13] offset:24 glc
	s_waitcnt vmcnt(0)
	buffer_invl2
	buffer_wbinvl1_vol
	global_load_dwordx2 v[0:1], v51, s[12:13] offset:40
	global_load_dwordx2 v[4:5], v51, s[12:13]
	s_waitcnt vmcnt(1)
	v_and_b32_e32 v0, v0, v2
	v_and_b32_e32 v1, v1, v3
	v_mul_lo_u32 v1, v1, 24
	v_mul_hi_u32 v6, v0, 24
	v_mul_lo_u32 v0, v0, 24
	v_add_u32_e32 v1, v6, v1
	s_waitcnt vmcnt(0)
	v_add_co_u32_e32 v0, vcc, v4, v0
	v_addc_co_u32_e32 v1, vcc, v5, v1, vcc
	global_load_dwordx2 v[0:1], v[0:1], off glc
	s_waitcnt vmcnt(0)
	global_atomic_cmpswap_x2 v[4:5], v51, v[0:3], s[12:13] offset:24 glc
	s_waitcnt vmcnt(0)
	buffer_invl2
	buffer_wbinvl1_vol
	v_cmp_ne_u64_e32 vcc, v[4:5], v[2:3]
	s_and_saveexec_b64 s[16:17], vcc
	s_cbranch_execz .LBB3_538
; %bb.535:                              ;   in Loop: Header=BB3_3 Depth=1
	s_mov_b64 s[18:19], 0
.LBB3_536:                              ;   Parent Loop BB3_3 Depth=1
                                        ; =>  This Inner Loop Header: Depth=2
	s_sleep 1
	global_load_dwordx2 v[0:1], v51, s[12:13] offset:40
	global_load_dwordx2 v[6:7], v51, s[12:13]
	v_pk_mov_b32 v[2:3], v[4:5], v[4:5] op_sel:[0,1]
	s_waitcnt vmcnt(1)
	v_and_b32_e32 v0, v0, v2
	v_and_b32_e32 v5, v1, v3
	s_waitcnt vmcnt(0)
	v_mad_u64_u32 v[0:1], s[20:21], v0, 24, v[6:7]
	v_mov_b32_e32 v4, v1
	v_mad_u64_u32 v[4:5], s[20:21], v5, 24, v[4:5]
	v_mov_b32_e32 v1, v4
	global_load_dwordx2 v[0:1], v[0:1], off glc
	s_waitcnt vmcnt(0)
	global_atomic_cmpswap_x2 v[4:5], v51, v[0:3], s[12:13] offset:24 glc
	s_waitcnt vmcnt(0)
	buffer_invl2
	buffer_wbinvl1_vol
	v_cmp_eq_u64_e32 vcc, v[4:5], v[2:3]
	s_or_b64 s[18:19], vcc, s[18:19]
	s_andn2_b64 exec, exec, s[18:19]
	s_cbranch_execnz .LBB3_536
; %bb.537:                              ;   in Loop: Header=BB3_3 Depth=1
	s_or_b64 exec, exec, s[18:19]
.LBB3_538:                              ;   in Loop: Header=BB3_3 Depth=1
	s_or_b64 exec, exec, s[16:17]
.LBB3_539:                              ;   in Loop: Header=BB3_3 Depth=1
	s_or_b64 exec, exec, s[14:15]
	s_waitcnt lgkmcnt(0)
	global_load_dwordx2 v[6:7], v51, s[12:13] offset:40
	global_load_dwordx4 v[0:3], v51, s[12:13]
	v_readfirstlane_b32 s14, v4
	v_readfirstlane_b32 s15, v5
	s_mov_b64 s[16:17], exec
	s_waitcnt vmcnt(0)
	v_readfirstlane_b32 s18, v6
	v_readfirstlane_b32 s19, v7
	s_and_b64 s[18:19], s[14:15], s[18:19]
	s_mul_i32 s20, s19, 24
	s_mul_hi_u32 s21, s18, 24
	s_mul_i32 s22, s18, 24
	s_add_i32 s20, s21, s20
	v_mov_b32_e32 v5, s20
	v_add_co_u32_e32 v4, vcc, s22, v0
	v_addc_co_u32_e32 v5, vcc, v1, v5, vcc
	s_and_saveexec_b64 s[20:21], s[4:5]
	s_cbranch_execz .LBB3_541
; %bb.540:                              ;   in Loop: Header=BB3_3 Depth=1
	v_pk_mov_b32 v[40:41], s[16:17], s[16:17] op_sel:[0,1]
	global_store_dwordx4 v[4:5], v[40:43], off offset:8
.LBB3_541:                              ;   in Loop: Header=BB3_3 Depth=1
	s_or_b64 exec, exec, s[20:21]
	s_lshl_b64 s[16:17], s[18:19], 12
	v_mov_b32_e32 v7, s17
	v_add_co_u32_e32 v6, vcc, s16, v2
	s_mov_b32 s29, s28
	v_addc_co_u32_e32 v7, vcc, v3, v7, vcc
	s_mov_b32 s30, s28
	s_mov_b32 s31, s28
	v_pk_mov_b32 v[8:9], s[28:29], s[28:29] op_sel:[0,1]
	v_lshlrev_b32_e32 v27, 6, v57
	v_mov_b32_e32 v49, v51
	v_mov_b32_e32 v50, v51
	v_readfirstlane_b32 s16, v6
	v_readfirstlane_b32 s17, v7
	v_pk_mov_b32 v[10:11], s[30:31], s[30:31] op_sel:[0,1]
	s_nop 3
	global_store_dwordx4 v27, v[48:51], s[16:17]
	global_store_dwordx4 v27, v[8:11], s[16:17] offset:16
	global_store_dwordx4 v27, v[8:11], s[16:17] offset:32
	;; [unrolled: 1-line block ×3, first 2 shown]
	s_and_saveexec_b64 s[16:17], s[4:5]
	s_cbranch_execz .LBB3_549
; %bb.542:                              ;   in Loop: Header=BB3_3 Depth=1
	global_load_dwordx2 v[12:13], v51, s[12:13] offset:32 glc
	global_load_dwordx2 v[2:3], v51, s[12:13] offset:40
	v_mov_b32_e32 v10, s14
	v_mov_b32_e32 v11, s15
	s_waitcnt vmcnt(0)
	v_and_b32_e32 v2, s14, v2
	v_and_b32_e32 v3, s15, v3
	v_mul_lo_u32 v3, v3, 24
	v_mul_hi_u32 v8, v2, 24
	v_mul_lo_u32 v2, v2, 24
	v_add_u32_e32 v3, v8, v3
	v_add_co_u32_e32 v8, vcc, v0, v2
	v_addc_co_u32_e32 v9, vcc, v1, v3, vcc
	global_store_dwordx2 v[8:9], v[12:13], off
	buffer_wbl2
	s_waitcnt vmcnt(0)
	global_atomic_cmpswap_x2 v[2:3], v51, v[10:13], s[12:13] offset:32 glc
	s_waitcnt vmcnt(0)
	v_cmp_ne_u64_e32 vcc, v[2:3], v[12:13]
	s_and_saveexec_b64 s[18:19], vcc
	s_cbranch_execz .LBB3_545
; %bb.543:                              ;   in Loop: Header=BB3_3 Depth=1
	s_mov_b64 s[20:21], 0
.LBB3_544:                              ;   Parent Loop BB3_3 Depth=1
                                        ; =>  This Inner Loop Header: Depth=2
	s_sleep 1
	global_store_dwordx2 v[8:9], v[2:3], off
	v_mov_b32_e32 v0, s14
	v_mov_b32_e32 v1, s15
	buffer_wbl2
	s_waitcnt vmcnt(0)
	global_atomic_cmpswap_x2 v[0:1], v51, v[0:3], s[12:13] offset:32 glc
	s_waitcnt vmcnt(0)
	v_cmp_eq_u64_e32 vcc, v[0:1], v[2:3]
	s_or_b64 s[20:21], vcc, s[20:21]
	v_pk_mov_b32 v[2:3], v[0:1], v[0:1] op_sel:[0,1]
	s_andn2_b64 exec, exec, s[20:21]
	s_cbranch_execnz .LBB3_544
.LBB3_545:                              ;   in Loop: Header=BB3_3 Depth=1
	s_or_b64 exec, exec, s[18:19]
	global_load_dwordx2 v[0:1], v51, s[12:13] offset:16
	s_mov_b64 s[20:21], exec
	v_mbcnt_lo_u32_b32 v2, s20, 0
	v_mbcnt_hi_u32_b32 v2, s21, v2
	v_cmp_eq_u32_e32 vcc, 0, v2
	s_and_saveexec_b64 s[18:19], vcc
	s_cbranch_execz .LBB3_547
; %bb.546:                              ;   in Loop: Header=BB3_3 Depth=1
	s_bcnt1_i32_b64 s20, s[20:21]
	v_mov_b32_e32 v50, s20
	buffer_wbl2
	s_waitcnt vmcnt(0)
	global_atomic_add_x2 v[0:1], v[50:51], off offset:8
.LBB3_547:                              ;   in Loop: Header=BB3_3 Depth=1
	s_or_b64 exec, exec, s[18:19]
	s_waitcnt vmcnt(0)
	global_load_dwordx2 v[2:3], v[0:1], off offset:16
	s_waitcnt vmcnt(0)
	v_cmp_eq_u64_e32 vcc, 0, v[2:3]
	s_cbranch_vccnz .LBB3_549
; %bb.548:                              ;   in Loop: Header=BB3_3 Depth=1
	global_load_dword v50, v[0:1], off offset:24
	s_waitcnt vmcnt(0)
	v_and_b32_e32 v0, 0xffffff, v50
	v_readfirstlane_b32 m0, v0
	buffer_wbl2
	global_store_dwordx2 v[2:3], v[50:51], off
	s_sendmsg sendmsg(MSG_INTERRUPT)
.LBB3_549:                              ;   in Loop: Header=BB3_3 Depth=1
	s_or_b64 exec, exec, s[16:17]
	v_add_co_u32_e32 v0, vcc, v6, v27
	v_addc_co_u32_e32 v1, vcc, 0, v7, vcc
	s_branch .LBB3_553
.LBB3_550:                              ;   in Loop: Header=BB3_553 Depth=2
	s_or_b64 exec, exec, s[16:17]
	v_readfirstlane_b32 s16, v2
	s_cmp_eq_u32 s16, 0
	s_cbranch_scc1 .LBB3_552
; %bb.551:                              ;   in Loop: Header=BB3_553 Depth=2
	s_sleep 1
	s_cbranch_execnz .LBB3_553
	s_branch .LBB3_555
.LBB3_552:                              ;   in Loop: Header=BB3_3 Depth=1
	s_branch .LBB3_555
.LBB3_553:                              ;   Parent Loop BB3_3 Depth=1
                                        ; =>  This Inner Loop Header: Depth=2
	v_mov_b32_e32 v2, 1
	s_and_saveexec_b64 s[16:17], s[4:5]
	s_cbranch_execz .LBB3_550
; %bb.554:                              ;   in Loop: Header=BB3_553 Depth=2
	global_load_dword v2, v[4:5], off offset:20 glc
	s_waitcnt vmcnt(0)
	buffer_invl2
	buffer_wbinvl1_vol
	v_and_b32_e32 v2, 1, v2
	s_branch .LBB3_550
.LBB3_555:                              ;   in Loop: Header=BB3_3 Depth=1
	global_load_dwordx2 v[0:1], v[0:1], off
	s_and_saveexec_b64 s[16:17], s[4:5]
	s_cbranch_execz .LBB3_559
; %bb.556:                              ;   in Loop: Header=BB3_3 Depth=1
	global_load_dwordx2 v[6:7], v51, s[12:13] offset:40
	global_load_dwordx2 v[8:9], v51, s[12:13] offset:24 glc
	global_load_dwordx2 v[10:11], v51, s[12:13]
	v_mov_b32_e32 v3, s15
	s_waitcnt vmcnt(2)
	v_add_co_u32_e32 v5, vcc, 1, v6
	v_addc_co_u32_e32 v12, vcc, 0, v7, vcc
	v_add_co_u32_e32 v2, vcc, s14, v5
	v_addc_co_u32_e32 v3, vcc, v12, v3, vcc
	v_cmp_eq_u64_e32 vcc, 0, v[2:3]
	v_cndmask_b32_e32 v3, v3, v12, vcc
	v_cndmask_b32_e32 v2, v2, v5, vcc
	v_and_b32_e32 v5, v3, v7
	v_and_b32_e32 v6, v2, v6
	v_mul_lo_u32 v5, v5, 24
	v_mul_hi_u32 v7, v6, 24
	v_mul_lo_u32 v6, v6, 24
	v_add_u32_e32 v5, v7, v5
	s_waitcnt vmcnt(0)
	v_add_co_u32_e32 v6, vcc, v10, v6
	v_addc_co_u32_e32 v7, vcc, v11, v5, vcc
	v_mov_b32_e32 v4, v8
	global_store_dwordx2 v[6:7], v[8:9], off
	v_mov_b32_e32 v5, v9
	buffer_wbl2
	s_waitcnt vmcnt(0)
	global_atomic_cmpswap_x2 v[4:5], v51, v[2:5], s[12:13] offset:24 glc
	s_waitcnt vmcnt(0)
	v_cmp_ne_u64_e32 vcc, v[4:5], v[8:9]
	s_and_b64 exec, exec, vcc
	s_cbranch_execz .LBB3_559
; %bb.557:                              ;   in Loop: Header=BB3_3 Depth=1
	s_mov_b64 s[4:5], 0
.LBB3_558:                              ;   Parent Loop BB3_3 Depth=1
                                        ; =>  This Inner Loop Header: Depth=2
	s_sleep 1
	global_store_dwordx2 v[6:7], v[4:5], off
	buffer_wbl2
	s_waitcnt vmcnt(0)
	global_atomic_cmpswap_x2 v[8:9], v51, v[2:5], s[12:13] offset:24 glc
	s_waitcnt vmcnt(0)
	v_cmp_eq_u64_e32 vcc, v[8:9], v[4:5]
	s_or_b64 s[4:5], vcc, s[4:5]
	v_pk_mov_b32 v[4:5], v[8:9], v[8:9] op_sel:[0,1]
	s_andn2_b64 exec, exec, s[4:5]
	s_cbranch_execnz .LBB3_558
.LBB3_559:                              ;   in Loop: Header=BB3_3 Depth=1
	s_or_b64 exec, exec, s[16:17]
	s_and_b64 vcc, exec, s[44:45]
	s_cbranch_vccz .LBB3_778
; %bb.560:                              ;   in Loop: Header=BB3_3 Depth=1
	s_waitcnt vmcnt(0)
	v_and_b32_e32 v22, 2, v0
	v_and_b32_e32 v2, -3, v0
	v_mov_b32_e32 v3, v1
	s_mov_b64 s[16:17], 34
	s_getpc_b64 s[14:15]
	s_add_u32 s14, s14, .str@rel32@lo+4
	s_addc_u32 s15, s15, .str@rel32@hi+12
	s_branch .LBB3_562
.LBB3_561:                              ;   in Loop: Header=BB3_562 Depth=2
	s_or_b64 exec, exec, s[22:23]
	s_sub_u32 s16, s16, s18
	s_subb_u32 s17, s17, s19
	s_add_u32 s14, s14, s18
	s_addc_u32 s15, s15, s19
	s_cmp_lg_u64 s[16:17], 0
	s_cbranch_scc0 .LBB3_644
.LBB3_562:                              ;   Parent Loop BB3_3 Depth=1
                                        ; =>  This Loop Header: Depth=2
                                        ;       Child Loop BB3_565 Depth 3
                                        ;       Child Loop BB3_572 Depth 3
	;; [unrolled: 1-line block ×11, first 2 shown]
	v_cmp_lt_u64_e64 s[4:5], s[16:17], 56
	s_and_b64 s[4:5], s[4:5], exec
	v_cmp_gt_u64_e64 s[4:5], s[16:17], 7
	s_cselect_b32 s19, s17, 0
	s_cselect_b32 s18, s16, 56
	s_and_b64 vcc, exec, s[4:5]
	s_cbranch_vccnz .LBB3_567
; %bb.563:                              ;   in Loop: Header=BB3_562 Depth=2
	s_mov_b64 s[4:5], 0
	s_cmp_eq_u64 s[16:17], 0
	s_waitcnt vmcnt(0)
	v_pk_mov_b32 v[4:5], 0, 0
	s_cbranch_scc1 .LBB3_566
; %bb.564:                              ;   in Loop: Header=BB3_562 Depth=2
	s_lshl_b64 s[20:21], s[18:19], 3
	s_mov_b64 s[22:23], 0
	v_pk_mov_b32 v[4:5], 0, 0
	s_mov_b64 s[24:25], s[14:15]
.LBB3_565:                              ;   Parent Loop BB3_3 Depth=1
                                        ;     Parent Loop BB3_562 Depth=2
                                        ; =>    This Inner Loop Header: Depth=3
	global_load_ubyte v6, v51, s[24:25]
	s_waitcnt vmcnt(0)
	v_and_b32_e32 v50, 0xffff, v6
	v_lshlrev_b64 v[6:7], s22, v[50:51]
	s_add_u32 s22, s22, 8
	s_addc_u32 s23, s23, 0
	s_add_u32 s24, s24, 1
	s_addc_u32 s25, s25, 0
	v_or_b32_e32 v4, v6, v4
	s_cmp_lg_u32 s20, s22
	v_or_b32_e32 v5, v7, v5
	s_cbranch_scc1 .LBB3_565
.LBB3_566:                              ;   in Loop: Header=BB3_562 Depth=2
	s_mov_b32 s24, 0
	s_andn2_b64 vcc, exec, s[4:5]
	s_mov_b64 s[4:5], s[14:15]
	s_cbranch_vccz .LBB3_568
	s_branch .LBB3_569
.LBB3_567:                              ;   in Loop: Header=BB3_562 Depth=2
                                        ; implicit-def: $vgpr4_vgpr5
                                        ; implicit-def: $sgpr24
	s_mov_b64 s[4:5], s[14:15]
.LBB3_568:                              ;   in Loop: Header=BB3_562 Depth=2
	global_load_dwordx2 v[4:5], v51, s[14:15]
	s_add_i32 s24, s18, -8
	s_add_u32 s4, s14, 8
	s_addc_u32 s5, s15, 0
.LBB3_569:                              ;   in Loop: Header=BB3_562 Depth=2
	s_cmp_gt_u32 s24, 7
	s_cbranch_scc1 .LBB3_573
; %bb.570:                              ;   in Loop: Header=BB3_562 Depth=2
	s_cmp_eq_u32 s24, 0
	s_cbranch_scc1 .LBB3_574
; %bb.571:                              ;   in Loop: Header=BB3_562 Depth=2
	s_mov_b64 s[20:21], 0
	v_pk_mov_b32 v[6:7], 0, 0
	s_mov_b64 s[22:23], 0
.LBB3_572:                              ;   Parent Loop BB3_3 Depth=1
                                        ;     Parent Loop BB3_562 Depth=2
                                        ; =>    This Inner Loop Header: Depth=3
	s_add_u32 vcc_lo, s4, s22
	s_addc_u32 vcc_hi, s5, s23
	global_load_ubyte v8, v51, vcc
	s_add_u32 s22, s22, 1
	s_addc_u32 s23, s23, 0
	s_waitcnt vmcnt(0)
	v_and_b32_e32 v50, 0xffff, v8
	v_lshlrev_b64 v[8:9], s20, v[50:51]
	s_add_u32 s20, s20, 8
	s_addc_u32 s21, s21, 0
	v_or_b32_e32 v6, v8, v6
	s_cmp_lg_u32 s24, s22
	v_or_b32_e32 v7, v9, v7
	s_cbranch_scc1 .LBB3_572
	s_branch .LBB3_575
.LBB3_573:                              ;   in Loop: Header=BB3_562 Depth=2
                                        ; implicit-def: $vgpr6_vgpr7
                                        ; implicit-def: $sgpr25
	s_branch .LBB3_576
.LBB3_574:                              ;   in Loop: Header=BB3_562 Depth=2
	v_pk_mov_b32 v[6:7], 0, 0
.LBB3_575:                              ;   in Loop: Header=BB3_562 Depth=2
	s_mov_b32 s25, 0
	s_cbranch_execnz .LBB3_577
.LBB3_576:                              ;   in Loop: Header=BB3_562 Depth=2
	global_load_dwordx2 v[6:7], v51, s[4:5]
	s_add_i32 s25, s24, -8
	s_add_u32 s4, s4, 8
	s_addc_u32 s5, s5, 0
.LBB3_577:                              ;   in Loop: Header=BB3_562 Depth=2
	s_cmp_gt_u32 s25, 7
	s_cbranch_scc1 .LBB3_581
; %bb.578:                              ;   in Loop: Header=BB3_562 Depth=2
	s_cmp_eq_u32 s25, 0
	s_cbranch_scc1 .LBB3_582
; %bb.579:                              ;   in Loop: Header=BB3_562 Depth=2
	s_mov_b64 s[20:21], 0
	v_pk_mov_b32 v[8:9], 0, 0
	s_mov_b64 s[22:23], 0
.LBB3_580:                              ;   Parent Loop BB3_3 Depth=1
                                        ;     Parent Loop BB3_562 Depth=2
                                        ; =>    This Inner Loop Header: Depth=3
	s_add_u32 vcc_lo, s4, s22
	s_addc_u32 vcc_hi, s5, s23
	global_load_ubyte v10, v51, vcc
	s_add_u32 s22, s22, 1
	s_addc_u32 s23, s23, 0
	s_waitcnt vmcnt(0)
	v_and_b32_e32 v50, 0xffff, v10
	v_lshlrev_b64 v[10:11], s20, v[50:51]
	s_add_u32 s20, s20, 8
	s_addc_u32 s21, s21, 0
	v_or_b32_e32 v8, v10, v8
	s_cmp_lg_u32 s25, s22
	v_or_b32_e32 v9, v11, v9
	s_cbranch_scc1 .LBB3_580
	s_branch .LBB3_583
.LBB3_581:                              ;   in Loop: Header=BB3_562 Depth=2
                                        ; implicit-def: $sgpr24
	s_branch .LBB3_584
.LBB3_582:                              ;   in Loop: Header=BB3_562 Depth=2
	v_pk_mov_b32 v[8:9], 0, 0
.LBB3_583:                              ;   in Loop: Header=BB3_562 Depth=2
	s_mov_b32 s24, 0
	s_cbranch_execnz .LBB3_585
.LBB3_584:                              ;   in Loop: Header=BB3_562 Depth=2
	global_load_dwordx2 v[8:9], v51, s[4:5]
	s_add_i32 s24, s25, -8
	s_add_u32 s4, s4, 8
	s_addc_u32 s5, s5, 0
.LBB3_585:                              ;   in Loop: Header=BB3_562 Depth=2
	s_cmp_gt_u32 s24, 7
	s_cbranch_scc1 .LBB3_589
; %bb.586:                              ;   in Loop: Header=BB3_562 Depth=2
	s_cmp_eq_u32 s24, 0
	s_cbranch_scc1 .LBB3_590
; %bb.587:                              ;   in Loop: Header=BB3_562 Depth=2
	s_mov_b64 s[20:21], 0
	v_pk_mov_b32 v[10:11], 0, 0
	s_mov_b64 s[22:23], 0
.LBB3_588:                              ;   Parent Loop BB3_3 Depth=1
                                        ;     Parent Loop BB3_562 Depth=2
                                        ; =>    This Inner Loop Header: Depth=3
	s_add_u32 vcc_lo, s4, s22
	s_addc_u32 vcc_hi, s5, s23
	global_load_ubyte v12, v51, vcc
	s_add_u32 s22, s22, 1
	s_addc_u32 s23, s23, 0
	s_waitcnt vmcnt(0)
	v_and_b32_e32 v50, 0xffff, v12
	v_lshlrev_b64 v[12:13], s20, v[50:51]
	s_add_u32 s20, s20, 8
	s_addc_u32 s21, s21, 0
	v_or_b32_e32 v10, v12, v10
	s_cmp_lg_u32 s24, s22
	v_or_b32_e32 v11, v13, v11
	s_cbranch_scc1 .LBB3_588
	s_branch .LBB3_591
.LBB3_589:                              ;   in Loop: Header=BB3_562 Depth=2
                                        ; implicit-def: $vgpr10_vgpr11
                                        ; implicit-def: $sgpr25
	s_branch .LBB3_592
.LBB3_590:                              ;   in Loop: Header=BB3_562 Depth=2
	v_pk_mov_b32 v[10:11], 0, 0
.LBB3_591:                              ;   in Loop: Header=BB3_562 Depth=2
	s_mov_b32 s25, 0
	s_cbranch_execnz .LBB3_593
.LBB3_592:                              ;   in Loop: Header=BB3_562 Depth=2
	global_load_dwordx2 v[10:11], v51, s[4:5]
	s_add_i32 s25, s24, -8
	s_add_u32 s4, s4, 8
	s_addc_u32 s5, s5, 0
.LBB3_593:                              ;   in Loop: Header=BB3_562 Depth=2
	s_cmp_gt_u32 s25, 7
	s_cbranch_scc1 .LBB3_597
; %bb.594:                              ;   in Loop: Header=BB3_562 Depth=2
	s_cmp_eq_u32 s25, 0
	s_cbranch_scc1 .LBB3_598
; %bb.595:                              ;   in Loop: Header=BB3_562 Depth=2
	s_mov_b64 s[20:21], 0
	v_pk_mov_b32 v[12:13], 0, 0
	s_mov_b64 s[22:23], 0
.LBB3_596:                              ;   Parent Loop BB3_3 Depth=1
                                        ;     Parent Loop BB3_562 Depth=2
                                        ; =>    This Inner Loop Header: Depth=3
	s_add_u32 vcc_lo, s4, s22
	s_addc_u32 vcc_hi, s5, s23
	global_load_ubyte v14, v51, vcc
	s_add_u32 s22, s22, 1
	s_addc_u32 s23, s23, 0
	s_waitcnt vmcnt(0)
	v_and_b32_e32 v50, 0xffff, v14
	v_lshlrev_b64 v[14:15], s20, v[50:51]
	s_add_u32 s20, s20, 8
	s_addc_u32 s21, s21, 0
	v_or_b32_e32 v12, v14, v12
	s_cmp_lg_u32 s25, s22
	v_or_b32_e32 v13, v15, v13
	s_cbranch_scc1 .LBB3_596
	s_branch .LBB3_599
.LBB3_597:                              ;   in Loop: Header=BB3_562 Depth=2
                                        ; implicit-def: $sgpr24
	s_branch .LBB3_600
.LBB3_598:                              ;   in Loop: Header=BB3_562 Depth=2
	v_pk_mov_b32 v[12:13], 0, 0
.LBB3_599:                              ;   in Loop: Header=BB3_562 Depth=2
	s_mov_b32 s24, 0
	s_cbranch_execnz .LBB3_601
.LBB3_600:                              ;   in Loop: Header=BB3_562 Depth=2
	global_load_dwordx2 v[12:13], v51, s[4:5]
	s_add_i32 s24, s25, -8
	s_add_u32 s4, s4, 8
	s_addc_u32 s5, s5, 0
.LBB3_601:                              ;   in Loop: Header=BB3_562 Depth=2
	s_cmp_gt_u32 s24, 7
	s_cbranch_scc1 .LBB3_605
; %bb.602:                              ;   in Loop: Header=BB3_562 Depth=2
	s_cmp_eq_u32 s24, 0
	s_cbranch_scc1 .LBB3_606
; %bb.603:                              ;   in Loop: Header=BB3_562 Depth=2
	s_mov_b64 s[20:21], 0
	v_pk_mov_b32 v[14:15], 0, 0
	s_mov_b64 s[22:23], 0
.LBB3_604:                              ;   Parent Loop BB3_3 Depth=1
                                        ;     Parent Loop BB3_562 Depth=2
                                        ; =>    This Inner Loop Header: Depth=3
	s_add_u32 vcc_lo, s4, s22
	s_addc_u32 vcc_hi, s5, s23
	global_load_ubyte v16, v51, vcc
	s_add_u32 s22, s22, 1
	s_addc_u32 s23, s23, 0
	s_waitcnt vmcnt(0)
	v_and_b32_e32 v50, 0xffff, v16
	v_lshlrev_b64 v[16:17], s20, v[50:51]
	s_add_u32 s20, s20, 8
	s_addc_u32 s21, s21, 0
	v_or_b32_e32 v14, v16, v14
	s_cmp_lg_u32 s24, s22
	v_or_b32_e32 v15, v17, v15
	s_cbranch_scc1 .LBB3_604
	s_branch .LBB3_607
.LBB3_605:                              ;   in Loop: Header=BB3_562 Depth=2
                                        ; implicit-def: $vgpr14_vgpr15
                                        ; implicit-def: $sgpr25
	s_branch .LBB3_608
.LBB3_606:                              ;   in Loop: Header=BB3_562 Depth=2
	v_pk_mov_b32 v[14:15], 0, 0
.LBB3_607:                              ;   in Loop: Header=BB3_562 Depth=2
	s_mov_b32 s25, 0
	s_cbranch_execnz .LBB3_609
.LBB3_608:                              ;   in Loop: Header=BB3_562 Depth=2
	global_load_dwordx2 v[14:15], v51, s[4:5]
	s_add_i32 s25, s24, -8
	s_add_u32 s4, s4, 8
	s_addc_u32 s5, s5, 0
.LBB3_609:                              ;   in Loop: Header=BB3_562 Depth=2
	s_cmp_gt_u32 s25, 7
	s_cbranch_scc1 .LBB3_613
; %bb.610:                              ;   in Loop: Header=BB3_562 Depth=2
	s_cmp_eq_u32 s25, 0
	s_cbranch_scc1 .LBB3_614
; %bb.611:                              ;   in Loop: Header=BB3_562 Depth=2
	s_mov_b64 s[20:21], 0
	v_pk_mov_b32 v[16:17], 0, 0
	s_mov_b64 s[22:23], s[4:5]
.LBB3_612:                              ;   Parent Loop BB3_3 Depth=1
                                        ;     Parent Loop BB3_562 Depth=2
                                        ; =>    This Inner Loop Header: Depth=3
	global_load_ubyte v18, v51, s[22:23]
	s_add_i32 s25, s25, -1
	s_waitcnt vmcnt(0)
	v_and_b32_e32 v50, 0xffff, v18
	v_lshlrev_b64 v[18:19], s20, v[50:51]
	s_add_u32 s20, s20, 8
	s_addc_u32 s21, s21, 0
	s_add_u32 s22, s22, 1
	s_addc_u32 s23, s23, 0
	v_or_b32_e32 v16, v18, v16
	s_cmp_lg_u32 s25, 0
	v_or_b32_e32 v17, v19, v17
	s_cbranch_scc1 .LBB3_612
	s_branch .LBB3_615
.LBB3_613:                              ;   in Loop: Header=BB3_562 Depth=2
	s_branch .LBB3_616
.LBB3_614:                              ;   in Loop: Header=BB3_562 Depth=2
	v_pk_mov_b32 v[16:17], 0, 0
.LBB3_615:                              ;   in Loop: Header=BB3_562 Depth=2
	s_cbranch_execnz .LBB3_617
.LBB3_616:                              ;   in Loop: Header=BB3_562 Depth=2
	global_load_dwordx2 v[16:17], v51, s[4:5]
.LBB3_617:                              ;   in Loop: Header=BB3_562 Depth=2
	v_readfirstlane_b32 s4, v57
	v_cmp_eq_u32_e64 s[4:5], s4, v57
	v_pk_mov_b32 v[24:25], 0, 0
	s_and_saveexec_b64 s[20:21], s[4:5]
	s_cbranch_execz .LBB3_623
; %bb.618:                              ;   in Loop: Header=BB3_562 Depth=2
	global_load_dwordx2 v[20:21], v51, s[12:13] offset:24 glc
	s_waitcnt vmcnt(0)
	buffer_invl2
	buffer_wbinvl1_vol
	global_load_dwordx2 v[18:19], v51, s[12:13] offset:40
	global_load_dwordx2 v[24:25], v51, s[12:13]
	s_waitcnt vmcnt(1)
	v_and_b32_e32 v18, v18, v20
	v_and_b32_e32 v19, v19, v21
	v_mul_lo_u32 v19, v19, 24
	v_mul_hi_u32 v29, v18, 24
	v_mul_lo_u32 v18, v18, 24
	v_add_u32_e32 v19, v29, v19
	s_waitcnt vmcnt(0)
	v_add_co_u32_e32 v18, vcc, v24, v18
	v_addc_co_u32_e32 v19, vcc, v25, v19, vcc
	global_load_dwordx2 v[18:19], v[18:19], off glc
	s_waitcnt vmcnt(0)
	global_atomic_cmpswap_x2 v[24:25], v51, v[18:21], s[12:13] offset:24 glc
	s_waitcnt vmcnt(0)
	buffer_invl2
	buffer_wbinvl1_vol
	v_cmp_ne_u64_e32 vcc, v[24:25], v[20:21]
	s_and_saveexec_b64 s[22:23], vcc
	s_cbranch_execz .LBB3_622
; %bb.619:                              ;   in Loop: Header=BB3_562 Depth=2
	s_mov_b64 s[24:25], 0
.LBB3_620:                              ;   Parent Loop BB3_3 Depth=1
                                        ;     Parent Loop BB3_562 Depth=2
                                        ; =>    This Inner Loop Header: Depth=3
	s_sleep 1
	global_load_dwordx2 v[18:19], v51, s[12:13] offset:40
	global_load_dwordx2 v[30:31], v51, s[12:13]
	v_pk_mov_b32 v[20:21], v[24:25], v[24:25] op_sel:[0,1]
	s_waitcnt vmcnt(1)
	v_and_b32_e32 v18, v18, v20
	v_and_b32_e32 v25, v19, v21
	s_waitcnt vmcnt(0)
	v_mad_u64_u32 v[18:19], vcc, v18, 24, v[30:31]
	v_mov_b32_e32 v24, v19
	v_mad_u64_u32 v[24:25], vcc, v25, 24, v[24:25]
	v_mov_b32_e32 v19, v24
	global_load_dwordx2 v[18:19], v[18:19], off glc
	s_waitcnt vmcnt(0)
	global_atomic_cmpswap_x2 v[24:25], v51, v[18:21], s[12:13] offset:24 glc
	s_waitcnt vmcnt(0)
	buffer_invl2
	buffer_wbinvl1_vol
	v_cmp_eq_u64_e32 vcc, v[24:25], v[20:21]
	s_or_b64 s[24:25], vcc, s[24:25]
	s_andn2_b64 exec, exec, s[24:25]
	s_cbranch_execnz .LBB3_620
; %bb.621:                              ;   in Loop: Header=BB3_562 Depth=2
	s_or_b64 exec, exec, s[24:25]
.LBB3_622:                              ;   in Loop: Header=BB3_562 Depth=2
	s_or_b64 exec, exec, s[22:23]
.LBB3_623:                              ;   in Loop: Header=BB3_562 Depth=2
	s_or_b64 exec, exec, s[20:21]
	global_load_dwordx2 v[30:31], v51, s[12:13] offset:40
	global_load_dwordx4 v[18:21], v51, s[12:13]
	v_readfirstlane_b32 s20, v24
	v_readfirstlane_b32 s21, v25
	s_mov_b64 s[22:23], exec
	s_waitcnt vmcnt(1)
	v_readfirstlane_b32 s24, v30
	v_readfirstlane_b32 s25, v31
	s_and_b64 s[24:25], s[20:21], s[24:25]
	s_mul_i32 s29, s25, 24
	s_mul_hi_u32 vcc_lo, s24, 24
	s_mul_i32 vcc_hi, s24, 24
	s_add_i32 s29, vcc_lo, s29
	v_mov_b32_e32 v25, s29
	s_waitcnt vmcnt(0)
	v_add_co_u32_e32 v24, vcc, vcc_hi, v18
	v_addc_co_u32_e32 v25, vcc, v19, v25, vcc
	s_and_saveexec_b64 vcc, s[4:5]
	s_cbranch_execz .LBB3_625
; %bb.624:                              ;   in Loop: Header=BB3_562 Depth=2
	v_pk_mov_b32 v[40:41], s[22:23], s[22:23] op_sel:[0,1]
	global_store_dwordx4 v[24:25], v[40:43], off offset:8
.LBB3_625:                              ;   in Loop: Header=BB3_562 Depth=2
	s_or_b64 exec, exec, vcc
	s_lshl_b64 s[22:23], s[24:25], 12
	v_mov_b32_e32 v29, s23
	v_add_co_u32_e32 v20, vcc, s22, v20
	v_addc_co_u32_e32 v21, vcc, v21, v29, vcc
	v_or_b32_e32 v30, v2, v22
	v_cmp_gt_u64_e64 vcc, s[16:17], 56
	s_lshl_b32 s22, s18, 2
	v_cndmask_b32_e32 v2, v30, v2, vcc
	s_add_i32 s22, s22, 28
	v_or_b32_e32 v29, 0, v3
	s_and_b32 s22, s22, 0x1e0
	v_and_b32_e32 v2, 0xffffff1f, v2
	v_cndmask_b32_e32 v3, v29, v3, vcc
	v_or_b32_e32 v2, s22, v2
	v_readfirstlane_b32 s22, v20
	v_readfirstlane_b32 s23, v21
	s_nop 4
	global_store_dwordx4 v27, v[2:5], s[22:23]
	global_store_dwordx4 v27, v[6:9], s[22:23] offset:16
	global_store_dwordx4 v27, v[10:13], s[22:23] offset:32
	global_store_dwordx4 v27, v[14:17], s[22:23] offset:48
	s_and_saveexec_b64 s[22:23], s[4:5]
	s_cbranch_execz .LBB3_633
; %bb.626:                              ;   in Loop: Header=BB3_562 Depth=2
	global_load_dwordx2 v[10:11], v51, s[12:13] offset:32 glc
	global_load_dwordx2 v[2:3], v51, s[12:13] offset:40
	v_mov_b32_e32 v8, s20
	v_mov_b32_e32 v9, s21
	s_waitcnt vmcnt(0)
	v_readfirstlane_b32 s24, v2
	v_readfirstlane_b32 s25, v3
	s_and_b64 s[24:25], s[24:25], s[20:21]
	s_mul_i32 s25, s25, 24
	s_mul_hi_u32 s29, s24, 24
	s_mul_i32 s24, s24, 24
	s_add_i32 s25, s29, s25
	v_mov_b32_e32 v2, s25
	v_add_co_u32_e32 v6, vcc, s24, v18
	v_addc_co_u32_e32 v7, vcc, v19, v2, vcc
	global_store_dwordx2 v[6:7], v[10:11], off
	buffer_wbl2
	s_waitcnt vmcnt(0)
	global_atomic_cmpswap_x2 v[4:5], v51, v[8:11], s[12:13] offset:32 glc
	s_waitcnt vmcnt(0)
	v_cmp_ne_u64_e32 vcc, v[4:5], v[10:11]
	s_and_saveexec_b64 s[24:25], vcc
	s_cbranch_execz .LBB3_629
; %bb.627:                              ;   in Loop: Header=BB3_562 Depth=2
	s_mov_b64 s[30:31], 0
.LBB3_628:                              ;   Parent Loop BB3_3 Depth=1
                                        ;     Parent Loop BB3_562 Depth=2
                                        ; =>    This Inner Loop Header: Depth=3
	s_sleep 1
	global_store_dwordx2 v[6:7], v[4:5], off
	v_mov_b32_e32 v2, s20
	v_mov_b32_e32 v3, s21
	buffer_wbl2
	s_waitcnt vmcnt(0)
	global_atomic_cmpswap_x2 v[2:3], v51, v[2:5], s[12:13] offset:32 glc
	s_waitcnt vmcnt(0)
	v_cmp_eq_u64_e32 vcc, v[2:3], v[4:5]
	s_or_b64 s[30:31], vcc, s[30:31]
	v_pk_mov_b32 v[4:5], v[2:3], v[2:3] op_sel:[0,1]
	s_andn2_b64 exec, exec, s[30:31]
	s_cbranch_execnz .LBB3_628
.LBB3_629:                              ;   in Loop: Header=BB3_562 Depth=2
	s_or_b64 exec, exec, s[24:25]
	global_load_dwordx2 v[2:3], v51, s[12:13] offset:16
	s_mov_b64 s[30:31], exec
	v_mbcnt_lo_u32_b32 v4, s30, 0
	v_mbcnt_hi_u32_b32 v4, s31, v4
	v_cmp_eq_u32_e32 vcc, 0, v4
	s_and_saveexec_b64 s[24:25], vcc
	s_cbranch_execz .LBB3_631
; %bb.630:                              ;   in Loop: Header=BB3_562 Depth=2
	s_bcnt1_i32_b64 s29, s[30:31]
	v_mov_b32_e32 v50, s29
	buffer_wbl2
	s_waitcnt vmcnt(0)
	global_atomic_add_x2 v[2:3], v[50:51], off offset:8
.LBB3_631:                              ;   in Loop: Header=BB3_562 Depth=2
	s_or_b64 exec, exec, s[24:25]
	s_waitcnt vmcnt(0)
	global_load_dwordx2 v[4:5], v[2:3], off offset:16
	s_waitcnt vmcnt(0)
	v_cmp_eq_u64_e32 vcc, 0, v[4:5]
	s_cbranch_vccnz .LBB3_633
; %bb.632:                              ;   in Loop: Header=BB3_562 Depth=2
	global_load_dword v50, v[2:3], off offset:24
	s_waitcnt vmcnt(0)
	v_and_b32_e32 v2, 0xffffff, v50
	v_readfirstlane_b32 m0, v2
	buffer_wbl2
	global_store_dwordx2 v[4:5], v[50:51], off
	s_sendmsg sendmsg(MSG_INTERRUPT)
.LBB3_633:                              ;   in Loop: Header=BB3_562 Depth=2
	s_or_b64 exec, exec, s[22:23]
	v_add_co_u32_e32 v2, vcc, v20, v27
	v_addc_co_u32_e32 v3, vcc, 0, v21, vcc
	s_branch .LBB3_637
.LBB3_634:                              ;   in Loop: Header=BB3_637 Depth=3
	s_or_b64 exec, exec, s[22:23]
	v_readfirstlane_b32 s22, v4
	s_cmp_eq_u32 s22, 0
	s_cbranch_scc1 .LBB3_636
; %bb.635:                              ;   in Loop: Header=BB3_637 Depth=3
	s_sleep 1
	s_cbranch_execnz .LBB3_637
	s_branch .LBB3_639
.LBB3_636:                              ;   in Loop: Header=BB3_562 Depth=2
	s_branch .LBB3_639
.LBB3_637:                              ;   Parent Loop BB3_3 Depth=1
                                        ;     Parent Loop BB3_562 Depth=2
                                        ; =>    This Inner Loop Header: Depth=3
	v_mov_b32_e32 v4, 1
	s_and_saveexec_b64 s[22:23], s[4:5]
	s_cbranch_execz .LBB3_634
; %bb.638:                              ;   in Loop: Header=BB3_637 Depth=3
	global_load_dword v4, v[24:25], off offset:20 glc
	s_waitcnt vmcnt(0)
	buffer_invl2
	buffer_wbinvl1_vol
	v_and_b32_e32 v4, 1, v4
	s_branch .LBB3_634
.LBB3_639:                              ;   in Loop: Header=BB3_562 Depth=2
	global_load_dwordx4 v[2:5], v[2:3], off
	s_and_saveexec_b64 s[22:23], s[4:5]
	s_cbranch_execz .LBB3_561
; %bb.640:                              ;   in Loop: Header=BB3_562 Depth=2
	global_load_dwordx2 v[8:9], v51, s[12:13] offset:40
	global_load_dwordx2 v[10:11], v51, s[12:13] offset:24 glc
	global_load_dwordx2 v[12:13], v51, s[12:13]
	s_waitcnt vmcnt(3)
	v_mov_b32_e32 v5, s21
	s_waitcnt vmcnt(2)
	v_add_co_u32_e32 v7, vcc, 1, v8
	v_addc_co_u32_e32 v14, vcc, 0, v9, vcc
	v_add_co_u32_e32 v4, vcc, s20, v7
	v_addc_co_u32_e32 v5, vcc, v14, v5, vcc
	v_cmp_eq_u64_e32 vcc, 0, v[4:5]
	v_cndmask_b32_e32 v5, v5, v14, vcc
	v_cndmask_b32_e32 v4, v4, v7, vcc
	v_and_b32_e32 v7, v5, v9
	v_and_b32_e32 v8, v4, v8
	v_mul_lo_u32 v7, v7, 24
	v_mul_hi_u32 v9, v8, 24
	v_mul_lo_u32 v8, v8, 24
	v_add_u32_e32 v7, v9, v7
	s_waitcnt vmcnt(0)
	v_add_co_u32_e32 v8, vcc, v12, v8
	v_addc_co_u32_e32 v9, vcc, v13, v7, vcc
	v_mov_b32_e32 v6, v10
	global_store_dwordx2 v[8:9], v[10:11], off
	v_mov_b32_e32 v7, v11
	buffer_wbl2
	s_waitcnt vmcnt(0)
	global_atomic_cmpswap_x2 v[6:7], v51, v[4:7], s[12:13] offset:24 glc
	s_waitcnt vmcnt(0)
	v_cmp_ne_u64_e32 vcc, v[6:7], v[10:11]
	s_and_b64 exec, exec, vcc
	s_cbranch_execz .LBB3_561
; %bb.641:                              ;   in Loop: Header=BB3_562 Depth=2
	s_mov_b64 s[4:5], 0
.LBB3_642:                              ;   Parent Loop BB3_3 Depth=1
                                        ;     Parent Loop BB3_562 Depth=2
                                        ; =>    This Inner Loop Header: Depth=3
	s_sleep 1
	global_store_dwordx2 v[8:9], v[6:7], off
	buffer_wbl2
	s_waitcnt vmcnt(0)
	global_atomic_cmpswap_x2 v[10:11], v51, v[4:7], s[12:13] offset:24 glc
	s_waitcnt vmcnt(0)
	v_cmp_eq_u64_e32 vcc, v[10:11], v[6:7]
	s_or_b64 s[4:5], vcc, s[4:5]
	v_pk_mov_b32 v[6:7], v[10:11], v[10:11] op_sel:[0,1]
	s_andn2_b64 exec, exec, s[4:5]
	s_cbranch_execnz .LBB3_642
	s_branch .LBB3_561
.LBB3_643:                              ;   in Loop: Header=BB3_3 Depth=1
	s_branch .LBB3_673
.LBB3_644:                              ;   in Loop: Header=BB3_3 Depth=1
	s_branch .LBB3_806
.LBB3_645:                              ;   in Loop: Header=BB3_3 Depth=1
                                        ; implicit-def: $vgpr2_vgpr3
	s_cbranch_execz .LBB3_673
; %bb.646:                              ;   in Loop: Header=BB3_3 Depth=1
	v_readfirstlane_b32 s4, v57
	v_cmp_eq_u32_e64 s[4:5], s4, v57
	s_waitcnt vmcnt(0)
	v_pk_mov_b32 v[2:3], 0, 0
	s_and_saveexec_b64 s[10:11], s[4:5]
	s_cbranch_execz .LBB3_652
; %bb.647:                              ;   in Loop: Header=BB3_3 Depth=1
	global_load_dwordx2 v[4:5], v51, s[8:9] offset:24 glc
	s_waitcnt vmcnt(0)
	buffer_invl2
	buffer_wbinvl1_vol
	global_load_dwordx2 v[2:3], v51, s[8:9] offset:40
	global_load_dwordx2 v[6:7], v51, s[8:9]
	s_waitcnt vmcnt(1)
	v_and_b32_e32 v2, v2, v4
	v_and_b32_e32 v3, v3, v5
	v_mul_lo_u32 v3, v3, 24
	v_mul_hi_u32 v8, v2, 24
	v_mul_lo_u32 v2, v2, 24
	v_add_u32_e32 v3, v8, v3
	s_waitcnt vmcnt(0)
	v_add_co_u32_e32 v2, vcc, v6, v2
	v_addc_co_u32_e32 v3, vcc, v7, v3, vcc
	global_load_dwordx2 v[2:3], v[2:3], off glc
	s_waitcnt vmcnt(0)
	global_atomic_cmpswap_x2 v[2:3], v51, v[2:5], s[8:9] offset:24 glc
	s_waitcnt vmcnt(0)
	buffer_invl2
	buffer_wbinvl1_vol
	v_cmp_ne_u64_e32 vcc, v[2:3], v[4:5]
	s_and_saveexec_b64 s[12:13], vcc
	s_cbranch_execz .LBB3_651
; %bb.648:                              ;   in Loop: Header=BB3_3 Depth=1
	s_mov_b64 s[14:15], 0
.LBB3_649:                              ;   Parent Loop BB3_3 Depth=1
                                        ; =>  This Inner Loop Header: Depth=2
	s_sleep 1
	global_load_dwordx2 v[6:7], v51, s[8:9] offset:40
	global_load_dwordx2 v[8:9], v51, s[8:9]
	v_pk_mov_b32 v[4:5], v[2:3], v[2:3] op_sel:[0,1]
	s_waitcnt vmcnt(1)
	v_and_b32_e32 v2, v6, v4
	s_waitcnt vmcnt(0)
	v_mad_u64_u32 v[2:3], s[16:17], v2, 24, v[8:9]
	v_and_b32_e32 v7, v7, v5
	v_mov_b32_e32 v6, v3
	v_mad_u64_u32 v[6:7], s[16:17], v7, 24, v[6:7]
	v_mov_b32_e32 v3, v6
	global_load_dwordx2 v[2:3], v[2:3], off glc
	s_waitcnt vmcnt(0)
	global_atomic_cmpswap_x2 v[2:3], v51, v[2:5], s[8:9] offset:24 glc
	s_waitcnt vmcnt(0)
	buffer_invl2
	buffer_wbinvl1_vol
	v_cmp_eq_u64_e32 vcc, v[2:3], v[4:5]
	s_or_b64 s[14:15], vcc, s[14:15]
	s_andn2_b64 exec, exec, s[14:15]
	s_cbranch_execnz .LBB3_649
; %bb.650:                              ;   in Loop: Header=BB3_3 Depth=1
	s_or_b64 exec, exec, s[14:15]
.LBB3_651:                              ;   in Loop: Header=BB3_3 Depth=1
	s_or_b64 exec, exec, s[12:13]
.LBB3_652:                              ;   in Loop: Header=BB3_3 Depth=1
	s_or_b64 exec, exec, s[10:11]
	global_load_dwordx2 v[8:9], v51, s[8:9] offset:40
	global_load_dwordx4 v[4:7], v51, s[8:9]
	v_readfirstlane_b32 s10, v2
	v_readfirstlane_b32 s11, v3
	s_mov_b64 s[12:13], exec
	s_waitcnt vmcnt(1)
	v_readfirstlane_b32 s14, v8
	v_readfirstlane_b32 s15, v9
	s_and_b64 s[14:15], s[10:11], s[14:15]
	s_mul_i32 s16, s15, 24
	s_mul_hi_u32 s17, s14, 24
	s_mul_i32 s22, s14, 24
	s_add_i32 s16, s17, s16
	v_mov_b32_e32 v2, s16
	s_waitcnt vmcnt(0)
	v_add_co_u32_e32 v8, vcc, s22, v4
	v_addc_co_u32_e32 v9, vcc, v5, v2, vcc
	s_and_saveexec_b64 s[16:17], s[4:5]
	s_cbranch_execz .LBB3_654
; %bb.653:                              ;   in Loop: Header=BB3_3 Depth=1
	v_pk_mov_b32 v[40:41], s[12:13], s[12:13] op_sel:[0,1]
	global_store_dwordx4 v[8:9], v[40:43], off offset:8
.LBB3_654:                              ;   in Loop: Header=BB3_3 Depth=1
	s_or_b64 exec, exec, s[16:17]
	s_lshl_b64 s[12:13], s[14:15], 12
	v_mov_b32_e32 v2, s13
	v_add_co_u32_e32 v6, vcc, s12, v6
	v_addc_co_u32_e32 v7, vcc, v7, v2, vcc
	v_and_or_b32 v0, v0, s71, 32
	v_mov_b32_e32 v2, v51
	v_mov_b32_e32 v3, v51
	v_readfirstlane_b32 s12, v6
	v_readfirstlane_b32 s13, v7
	s_mov_b32 s29, s28
	s_mov_b32 s30, s28
	;; [unrolled: 1-line block ×3, first 2 shown]
	s_nop 1
	global_store_dwordx4 v27, v[0:3], s[12:13]
	s_nop 0
	v_pk_mov_b32 v[0:1], s[28:29], s[28:29] op_sel:[0,1]
	v_pk_mov_b32 v[2:3], s[30:31], s[30:31] op_sel:[0,1]
	global_store_dwordx4 v27, v[0:3], s[12:13] offset:16
	global_store_dwordx4 v27, v[0:3], s[12:13] offset:32
	global_store_dwordx4 v27, v[0:3], s[12:13] offset:48
	s_and_saveexec_b64 s[12:13], s[4:5]
	s_cbranch_execz .LBB3_662
; %bb.655:                              ;   in Loop: Header=BB3_3 Depth=1
	global_load_dwordx2 v[12:13], v51, s[8:9] offset:32 glc
	global_load_dwordx2 v[0:1], v51, s[8:9] offset:40
	v_mov_b32_e32 v10, s10
	v_mov_b32_e32 v11, s11
	s_waitcnt vmcnt(0)
	v_readfirstlane_b32 s14, v0
	v_readfirstlane_b32 s15, v1
	s_and_b64 s[14:15], s[14:15], s[10:11]
	s_mul_i32 s15, s15, 24
	s_mul_hi_u32 s16, s14, 24
	s_mul_i32 s14, s14, 24
	s_add_i32 s15, s16, s15
	v_mov_b32_e32 v0, s15
	v_add_co_u32_e32 v4, vcc, s14, v4
	v_addc_co_u32_e32 v5, vcc, v5, v0, vcc
	global_store_dwordx2 v[4:5], v[12:13], off
	buffer_wbl2
	s_waitcnt vmcnt(0)
	global_atomic_cmpswap_x2 v[2:3], v51, v[10:13], s[8:9] offset:32 glc
	s_waitcnt vmcnt(0)
	v_cmp_ne_u64_e32 vcc, v[2:3], v[12:13]
	s_and_saveexec_b64 s[14:15], vcc
	s_cbranch_execz .LBB3_658
; %bb.656:                              ;   in Loop: Header=BB3_3 Depth=1
	s_mov_b64 s[16:17], 0
.LBB3_657:                              ;   Parent Loop BB3_3 Depth=1
                                        ; =>  This Inner Loop Header: Depth=2
	s_sleep 1
	global_store_dwordx2 v[4:5], v[2:3], off
	v_mov_b32_e32 v0, s10
	v_mov_b32_e32 v1, s11
	buffer_wbl2
	s_waitcnt vmcnt(0)
	global_atomic_cmpswap_x2 v[0:1], v51, v[0:3], s[8:9] offset:32 glc
	s_waitcnt vmcnt(0)
	v_cmp_eq_u64_e32 vcc, v[0:1], v[2:3]
	s_or_b64 s[16:17], vcc, s[16:17]
	v_pk_mov_b32 v[2:3], v[0:1], v[0:1] op_sel:[0,1]
	s_andn2_b64 exec, exec, s[16:17]
	s_cbranch_execnz .LBB3_657
.LBB3_658:                              ;   in Loop: Header=BB3_3 Depth=1
	s_or_b64 exec, exec, s[14:15]
	global_load_dwordx2 v[0:1], v51, s[8:9] offset:16
	s_mov_b64 s[16:17], exec
	v_mbcnt_lo_u32_b32 v2, s16, 0
	v_mbcnt_hi_u32_b32 v2, s17, v2
	v_cmp_eq_u32_e32 vcc, 0, v2
	s_and_saveexec_b64 s[14:15], vcc
	s_cbranch_execz .LBB3_660
; %bb.659:                              ;   in Loop: Header=BB3_3 Depth=1
	s_bcnt1_i32_b64 s16, s[16:17]
	v_mov_b32_e32 v50, s16
	buffer_wbl2
	s_waitcnt vmcnt(0)
	global_atomic_add_x2 v[0:1], v[50:51], off offset:8
.LBB3_660:                              ;   in Loop: Header=BB3_3 Depth=1
	s_or_b64 exec, exec, s[14:15]
	s_waitcnt vmcnt(0)
	global_load_dwordx2 v[2:3], v[0:1], off offset:16
	s_waitcnt vmcnt(0)
	v_cmp_eq_u64_e32 vcc, 0, v[2:3]
	s_cbranch_vccnz .LBB3_662
; %bb.661:                              ;   in Loop: Header=BB3_3 Depth=1
	global_load_dword v50, v[0:1], off offset:24
	s_waitcnt vmcnt(0)
	v_and_b32_e32 v0, 0xffffff, v50
	v_readfirstlane_b32 m0, v0
	buffer_wbl2
	global_store_dwordx2 v[2:3], v[50:51], off
	s_sendmsg sendmsg(MSG_INTERRUPT)
.LBB3_662:                              ;   in Loop: Header=BB3_3 Depth=1
	s_or_b64 exec, exec, s[12:13]
	v_add_co_u32_e32 v0, vcc, v6, v27
	v_addc_co_u32_e32 v1, vcc, 0, v7, vcc
	s_branch .LBB3_666
.LBB3_663:                              ;   in Loop: Header=BB3_666 Depth=2
	s_or_b64 exec, exec, s[12:13]
	v_readfirstlane_b32 s12, v2
	s_cmp_eq_u32 s12, 0
	s_cbranch_scc1 .LBB3_665
; %bb.664:                              ;   in Loop: Header=BB3_666 Depth=2
	s_sleep 1
	s_cbranch_execnz .LBB3_666
	s_branch .LBB3_668
.LBB3_665:                              ;   in Loop: Header=BB3_3 Depth=1
	s_branch .LBB3_668
.LBB3_666:                              ;   Parent Loop BB3_3 Depth=1
                                        ; =>  This Inner Loop Header: Depth=2
	v_mov_b32_e32 v2, 1
	s_and_saveexec_b64 s[12:13], s[4:5]
	s_cbranch_execz .LBB3_663
; %bb.667:                              ;   in Loop: Header=BB3_666 Depth=2
	global_load_dword v2, v[8:9], off offset:20 glc
	s_waitcnt vmcnt(0)
	buffer_invl2
	buffer_wbinvl1_vol
	v_and_b32_e32 v2, 1, v2
	s_branch .LBB3_663
.LBB3_668:                              ;   in Loop: Header=BB3_3 Depth=1
	global_load_dwordx2 v[2:3], v[0:1], off
	s_and_saveexec_b64 s[12:13], s[4:5]
	s_cbranch_execz .LBB3_672
; %bb.669:                              ;   in Loop: Header=BB3_3 Depth=1
	global_load_dwordx2 v[0:1], v51, s[8:9] offset:40
	global_load_dwordx2 v[8:9], v51, s[8:9] offset:24 glc
	global_load_dwordx2 v[10:11], v51, s[8:9]
	v_mov_b32_e32 v5, s11
	s_waitcnt vmcnt(2)
	v_add_co_u32_e32 v7, vcc, 1, v0
	v_addc_co_u32_e32 v12, vcc, 0, v1, vcc
	v_add_co_u32_e32 v4, vcc, s10, v7
	v_addc_co_u32_e32 v5, vcc, v12, v5, vcc
	v_cmp_eq_u64_e32 vcc, 0, v[4:5]
	v_cndmask_b32_e32 v5, v5, v12, vcc
	v_cndmask_b32_e32 v4, v4, v7, vcc
	v_and_b32_e32 v1, v5, v1
	v_and_b32_e32 v0, v4, v0
	v_mul_lo_u32 v1, v1, 24
	v_mul_hi_u32 v7, v0, 24
	v_mul_lo_u32 v0, v0, 24
	v_add_u32_e32 v1, v7, v1
	s_waitcnt vmcnt(0)
	v_add_co_u32_e32 v0, vcc, v10, v0
	v_addc_co_u32_e32 v1, vcc, v11, v1, vcc
	v_mov_b32_e32 v6, v8
	global_store_dwordx2 v[0:1], v[8:9], off
	v_mov_b32_e32 v7, v9
	buffer_wbl2
	s_waitcnt vmcnt(0)
	global_atomic_cmpswap_x2 v[6:7], v51, v[4:7], s[8:9] offset:24 glc
	s_waitcnt vmcnt(0)
	v_cmp_ne_u64_e32 vcc, v[6:7], v[8:9]
	s_and_b64 exec, exec, vcc
	s_cbranch_execz .LBB3_672
; %bb.670:                              ;   in Loop: Header=BB3_3 Depth=1
	s_mov_b64 s[4:5], 0
.LBB3_671:                              ;   Parent Loop BB3_3 Depth=1
                                        ; =>  This Inner Loop Header: Depth=2
	s_sleep 1
	global_store_dwordx2 v[0:1], v[6:7], off
	buffer_wbl2
	s_waitcnt vmcnt(0)
	global_atomic_cmpswap_x2 v[8:9], v51, v[4:7], s[8:9] offset:24 glc
	s_waitcnt vmcnt(0)
	v_cmp_eq_u64_e32 vcc, v[8:9], v[6:7]
	s_or_b64 s[4:5], vcc, s[4:5]
	v_pk_mov_b32 v[6:7], v[8:9], v[8:9] op_sel:[0,1]
	s_andn2_b64 exec, exec, s[4:5]
	s_cbranch_execnz .LBB3_671
.LBB3_672:                              ;   in Loop: Header=BB3_3 Depth=1
	s_or_b64 exec, exec, s[12:13]
.LBB3_673:                              ;   in Loop: Header=BB3_3 Depth=1
	v_readfirstlane_b32 s4, v57
	v_cmp_eq_u32_e64 s[4:5], s4, v57
	s_waitcnt vmcnt(0)
	v_pk_mov_b32 v[0:1], 0, 0
	s_and_saveexec_b64 s[10:11], s[4:5]
	s_cbranch_execz .LBB3_679
; %bb.674:                              ;   in Loop: Header=BB3_3 Depth=1
	global_load_dwordx2 v[6:7], v51, s[8:9] offset:24 glc
	s_waitcnt vmcnt(0)
	buffer_invl2
	buffer_wbinvl1_vol
	global_load_dwordx2 v[0:1], v51, s[8:9] offset:40
	global_load_dwordx2 v[4:5], v51, s[8:9]
	s_waitcnt vmcnt(1)
	v_and_b32_e32 v0, v0, v6
	v_and_b32_e32 v1, v1, v7
	v_mul_lo_u32 v1, v1, 24
	v_mul_hi_u32 v8, v0, 24
	v_mul_lo_u32 v0, v0, 24
	v_add_u32_e32 v1, v8, v1
	s_waitcnt vmcnt(0)
	v_add_co_u32_e32 v0, vcc, v4, v0
	v_addc_co_u32_e32 v1, vcc, v5, v1, vcc
	global_load_dwordx2 v[4:5], v[0:1], off glc
	s_waitcnt vmcnt(0)
	global_atomic_cmpswap_x2 v[0:1], v51, v[4:7], s[8:9] offset:24 glc
	s_waitcnt vmcnt(0)
	buffer_invl2
	buffer_wbinvl1_vol
	v_cmp_ne_u64_e32 vcc, v[0:1], v[6:7]
	s_and_saveexec_b64 s[12:13], vcc
	s_cbranch_execz .LBB3_678
; %bb.675:                              ;   in Loop: Header=BB3_3 Depth=1
	s_mov_b64 s[14:15], 0
.LBB3_676:                              ;   Parent Loop BB3_3 Depth=1
                                        ; =>  This Inner Loop Header: Depth=2
	s_sleep 1
	global_load_dwordx2 v[4:5], v51, s[8:9] offset:40
	global_load_dwordx2 v[8:9], v51, s[8:9]
	v_pk_mov_b32 v[6:7], v[0:1], v[0:1] op_sel:[0,1]
	s_waitcnt vmcnt(1)
	v_and_b32_e32 v0, v4, v6
	s_waitcnt vmcnt(0)
	v_mad_u64_u32 v[0:1], s[16:17], v0, 24, v[8:9]
	v_and_b32_e32 v5, v5, v7
	v_mov_b32_e32 v4, v1
	v_mad_u64_u32 v[4:5], s[16:17], v5, 24, v[4:5]
	v_mov_b32_e32 v1, v4
	global_load_dwordx2 v[4:5], v[0:1], off glc
	s_waitcnt vmcnt(0)
	global_atomic_cmpswap_x2 v[0:1], v51, v[4:7], s[8:9] offset:24 glc
	s_waitcnt vmcnt(0)
	buffer_invl2
	buffer_wbinvl1_vol
	v_cmp_eq_u64_e32 vcc, v[0:1], v[6:7]
	s_or_b64 s[14:15], vcc, s[14:15]
	s_andn2_b64 exec, exec, s[14:15]
	s_cbranch_execnz .LBB3_676
; %bb.677:                              ;   in Loop: Header=BB3_3 Depth=1
	s_or_b64 exec, exec, s[14:15]
.LBB3_678:                              ;   in Loop: Header=BB3_3 Depth=1
	s_or_b64 exec, exec, s[12:13]
.LBB3_679:                              ;   in Loop: Header=BB3_3 Depth=1
	s_or_b64 exec, exec, s[10:11]
	global_load_dwordx2 v[4:5], v51, s[8:9] offset:40
	global_load_dwordx4 v[6:9], v51, s[8:9]
	v_readfirstlane_b32 s10, v0
	v_readfirstlane_b32 s11, v1
	s_mov_b64 s[12:13], exec
	s_waitcnt vmcnt(1)
	v_readfirstlane_b32 s14, v4
	v_readfirstlane_b32 s15, v5
	s_and_b64 s[14:15], s[10:11], s[14:15]
	s_mul_i32 s16, s15, 24
	s_mul_hi_u32 s17, s14, 24
	s_mul_i32 s22, s14, 24
	s_add_i32 s16, s17, s16
	v_mov_b32_e32 v0, s16
	s_waitcnt vmcnt(0)
	v_add_co_u32_e32 v10, vcc, s22, v6
	v_addc_co_u32_e32 v11, vcc, v7, v0, vcc
	s_and_saveexec_b64 s[16:17], s[4:5]
	s_cbranch_execz .LBB3_681
; %bb.680:                              ;   in Loop: Header=BB3_3 Depth=1
	v_pk_mov_b32 v[40:41], s[12:13], s[12:13] op_sel:[0,1]
	global_store_dwordx4 v[10:11], v[40:43], off offset:8
.LBB3_681:                              ;   in Loop: Header=BB3_3 Depth=1
	s_or_b64 exec, exec, s[16:17]
	s_lshl_b64 s[12:13], s[14:15], 12
	v_mov_b32_e32 v0, s13
	v_add_co_u32_e32 v8, vcc, s12, v8
	v_addc_co_u32_e32 v9, vcc, v9, v0, vcc
	v_and_or_b32 v2, v2, s71, 32
	v_mov_b32_e32 v4, v54
	v_mov_b32_e32 v5, v55
	v_readfirstlane_b32 s12, v8
	v_readfirstlane_b32 s13, v9
	s_mov_b32 s29, s28
	s_mov_b32 s30, s28
	s_mov_b32 s31, s28
	s_nop 1
	global_store_dwordx4 v27, v[2:5], s[12:13]
	v_pk_mov_b32 v[0:1], s[28:29], s[28:29] op_sel:[0,1]
	v_pk_mov_b32 v[2:3], s[30:31], s[30:31] op_sel:[0,1]
	global_store_dwordx4 v27, v[0:3], s[12:13] offset:16
	global_store_dwordx4 v27, v[0:3], s[12:13] offset:32
	;; [unrolled: 1-line block ×3, first 2 shown]
	s_and_saveexec_b64 s[12:13], s[4:5]
	s_cbranch_execz .LBB3_689
; %bb.682:                              ;   in Loop: Header=BB3_3 Depth=1
	global_load_dwordx2 v[14:15], v51, s[8:9] offset:32 glc
	global_load_dwordx2 v[0:1], v51, s[8:9] offset:40
	v_mov_b32_e32 v12, s10
	v_mov_b32_e32 v13, s11
	s_waitcnt vmcnt(0)
	v_readfirstlane_b32 s14, v0
	v_readfirstlane_b32 s15, v1
	s_and_b64 s[14:15], s[14:15], s[10:11]
	s_mul_i32 s15, s15, 24
	s_mul_hi_u32 s16, s14, 24
	s_mul_i32 s14, s14, 24
	s_add_i32 s15, s16, s15
	v_mov_b32_e32 v0, s15
	v_add_co_u32_e32 v4, vcc, s14, v6
	v_addc_co_u32_e32 v5, vcc, v7, v0, vcc
	global_store_dwordx2 v[4:5], v[14:15], off
	buffer_wbl2
	s_waitcnt vmcnt(0)
	global_atomic_cmpswap_x2 v[2:3], v51, v[12:15], s[8:9] offset:32 glc
	s_waitcnt vmcnt(0)
	v_cmp_ne_u64_e32 vcc, v[2:3], v[14:15]
	s_and_saveexec_b64 s[14:15], vcc
	s_cbranch_execz .LBB3_685
; %bb.683:                              ;   in Loop: Header=BB3_3 Depth=1
	s_mov_b64 s[16:17], 0
.LBB3_684:                              ;   Parent Loop BB3_3 Depth=1
                                        ; =>  This Inner Loop Header: Depth=2
	s_sleep 1
	global_store_dwordx2 v[4:5], v[2:3], off
	v_mov_b32_e32 v0, s10
	v_mov_b32_e32 v1, s11
	buffer_wbl2
	s_waitcnt vmcnt(0)
	global_atomic_cmpswap_x2 v[0:1], v51, v[0:3], s[8:9] offset:32 glc
	s_waitcnt vmcnt(0)
	v_cmp_eq_u64_e32 vcc, v[0:1], v[2:3]
	s_or_b64 s[16:17], vcc, s[16:17]
	v_pk_mov_b32 v[2:3], v[0:1], v[0:1] op_sel:[0,1]
	s_andn2_b64 exec, exec, s[16:17]
	s_cbranch_execnz .LBB3_684
.LBB3_685:                              ;   in Loop: Header=BB3_3 Depth=1
	s_or_b64 exec, exec, s[14:15]
	global_load_dwordx2 v[0:1], v51, s[8:9] offset:16
	s_mov_b64 s[16:17], exec
	v_mbcnt_lo_u32_b32 v2, s16, 0
	v_mbcnt_hi_u32_b32 v2, s17, v2
	v_cmp_eq_u32_e32 vcc, 0, v2
	s_and_saveexec_b64 s[14:15], vcc
	s_cbranch_execz .LBB3_687
; %bb.686:                              ;   in Loop: Header=BB3_3 Depth=1
	s_bcnt1_i32_b64 s16, s[16:17]
	v_mov_b32_e32 v50, s16
	buffer_wbl2
	s_waitcnt vmcnt(0)
	global_atomic_add_x2 v[0:1], v[50:51], off offset:8
.LBB3_687:                              ;   in Loop: Header=BB3_3 Depth=1
	s_or_b64 exec, exec, s[14:15]
	s_waitcnt vmcnt(0)
	global_load_dwordx2 v[2:3], v[0:1], off offset:16
	s_waitcnt vmcnt(0)
	v_cmp_eq_u64_e32 vcc, 0, v[2:3]
	s_cbranch_vccnz .LBB3_689
; %bb.688:                              ;   in Loop: Header=BB3_3 Depth=1
	global_load_dword v50, v[0:1], off offset:24
	s_waitcnt vmcnt(0)
	v_and_b32_e32 v0, 0xffffff, v50
	v_readfirstlane_b32 m0, v0
	buffer_wbl2
	global_store_dwordx2 v[2:3], v[50:51], off
	s_sendmsg sendmsg(MSG_INTERRUPT)
.LBB3_689:                              ;   in Loop: Header=BB3_3 Depth=1
	s_or_b64 exec, exec, s[12:13]
	v_add_co_u32_e32 v0, vcc, v8, v27
	v_addc_co_u32_e32 v1, vcc, 0, v9, vcc
	s_branch .LBB3_693
.LBB3_690:                              ;   in Loop: Header=BB3_693 Depth=2
	s_or_b64 exec, exec, s[12:13]
	v_readfirstlane_b32 s12, v2
	s_cmp_eq_u32 s12, 0
	s_cbranch_scc1 .LBB3_692
; %bb.691:                              ;   in Loop: Header=BB3_693 Depth=2
	s_sleep 1
	s_cbranch_execnz .LBB3_693
	s_branch .LBB3_695
.LBB3_692:                              ;   in Loop: Header=BB3_3 Depth=1
	s_branch .LBB3_695
.LBB3_693:                              ;   Parent Loop BB3_3 Depth=1
                                        ; =>  This Inner Loop Header: Depth=2
	v_mov_b32_e32 v2, 1
	s_and_saveexec_b64 s[12:13], s[4:5]
	s_cbranch_execz .LBB3_690
; %bb.694:                              ;   in Loop: Header=BB3_693 Depth=2
	global_load_dword v2, v[10:11], off offset:20 glc
	s_waitcnt vmcnt(0)
	buffer_invl2
	buffer_wbinvl1_vol
	v_and_b32_e32 v2, 1, v2
	s_branch .LBB3_690
.LBB3_695:                              ;   in Loop: Header=BB3_3 Depth=1
	global_load_dwordx2 v[52:53], v[0:1], off
	s_and_saveexec_b64 s[12:13], s[4:5]
	s_cbranch_execz .LBB3_699
; %bb.696:                              ;   in Loop: Header=BB3_3 Depth=1
	global_load_dwordx2 v[4:5], v51, s[8:9] offset:40
	global_load_dwordx2 v[6:7], v51, s[8:9] offset:24 glc
	global_load_dwordx2 v[8:9], v51, s[8:9]
	v_mov_b32_e32 v1, s11
	s_waitcnt vmcnt(2)
	v_add_co_u32_e32 v3, vcc, 1, v4
	v_addc_co_u32_e32 v10, vcc, 0, v5, vcc
	v_add_co_u32_e32 v0, vcc, s10, v3
	v_addc_co_u32_e32 v1, vcc, v10, v1, vcc
	v_cmp_eq_u64_e32 vcc, 0, v[0:1]
	v_cndmask_b32_e32 v1, v1, v10, vcc
	v_cndmask_b32_e32 v0, v0, v3, vcc
	v_and_b32_e32 v3, v1, v5
	v_and_b32_e32 v4, v0, v4
	v_mul_lo_u32 v3, v3, 24
	v_mul_hi_u32 v5, v4, 24
	v_mul_lo_u32 v4, v4, 24
	v_add_u32_e32 v3, v5, v3
	s_waitcnt vmcnt(0)
	v_add_co_u32_e32 v4, vcc, v8, v4
	v_addc_co_u32_e32 v5, vcc, v9, v3, vcc
	v_mov_b32_e32 v2, v6
	global_store_dwordx2 v[4:5], v[6:7], off
	v_mov_b32_e32 v3, v7
	buffer_wbl2
	s_waitcnt vmcnt(0)
	global_atomic_cmpswap_x2 v[2:3], v51, v[0:3], s[8:9] offset:24 glc
	s_waitcnt vmcnt(0)
	v_cmp_ne_u64_e32 vcc, v[2:3], v[6:7]
	s_and_b64 exec, exec, vcc
	s_cbranch_execz .LBB3_699
; %bb.697:                              ;   in Loop: Header=BB3_3 Depth=1
	s_mov_b64 s[4:5], 0
.LBB3_698:                              ;   Parent Loop BB3_3 Depth=1
                                        ; =>  This Inner Loop Header: Depth=2
	s_sleep 1
	global_store_dwordx2 v[4:5], v[2:3], off
	buffer_wbl2
	s_waitcnt vmcnt(0)
	global_atomic_cmpswap_x2 v[6:7], v51, v[0:3], s[8:9] offset:24 glc
	s_waitcnt vmcnt(0)
	v_cmp_eq_u64_e32 vcc, v[6:7], v[2:3]
	s_or_b64 s[4:5], vcc, s[4:5]
	v_pk_mov_b32 v[2:3], v[6:7], v[6:7] op_sel:[0,1]
	s_andn2_b64 exec, exec, s[4:5]
	s_cbranch_execnz .LBB3_698
.LBB3_699:                              ;   in Loop: Header=BB3_3 Depth=1
	s_or_b64 exec, exec, s[12:13]
	v_readfirstlane_b32 s4, v57
	v_cmp_eq_u32_e64 s[4:5], s4, v57
	v_pk_mov_b32 v[4:5], 0, 0
	s_and_saveexec_b64 s[10:11], s[4:5]
	s_cbranch_execz .LBB3_705
; %bb.700:                              ;   in Loop: Header=BB3_3 Depth=1
	global_load_dwordx2 v[2:3], v51, s[8:9] offset:24 glc
	s_waitcnt vmcnt(0)
	buffer_invl2
	buffer_wbinvl1_vol
	global_load_dwordx2 v[0:1], v51, s[8:9] offset:40
	global_load_dwordx2 v[4:5], v51, s[8:9]
	s_waitcnt vmcnt(1)
	v_and_b32_e32 v0, v0, v2
	v_and_b32_e32 v1, v1, v3
	v_mul_lo_u32 v1, v1, 24
	v_mul_hi_u32 v6, v0, 24
	v_mul_lo_u32 v0, v0, 24
	v_add_u32_e32 v1, v6, v1
	s_waitcnt vmcnt(0)
	v_add_co_u32_e32 v0, vcc, v4, v0
	v_addc_co_u32_e32 v1, vcc, v5, v1, vcc
	global_load_dwordx2 v[0:1], v[0:1], off glc
	s_waitcnt vmcnt(0)
	global_atomic_cmpswap_x2 v[4:5], v51, v[0:3], s[8:9] offset:24 glc
	s_waitcnt vmcnt(0)
	buffer_invl2
	buffer_wbinvl1_vol
	v_cmp_ne_u64_e32 vcc, v[4:5], v[2:3]
	s_and_saveexec_b64 s[12:13], vcc
	s_cbranch_execz .LBB3_704
; %bb.701:                              ;   in Loop: Header=BB3_3 Depth=1
	s_mov_b64 s[14:15], 0
.LBB3_702:                              ;   Parent Loop BB3_3 Depth=1
                                        ; =>  This Inner Loop Header: Depth=2
	s_sleep 1
	global_load_dwordx2 v[0:1], v51, s[8:9] offset:40
	global_load_dwordx2 v[6:7], v51, s[8:9]
	v_pk_mov_b32 v[2:3], v[4:5], v[4:5] op_sel:[0,1]
	s_waitcnt vmcnt(1)
	v_and_b32_e32 v0, v0, v2
	v_and_b32_e32 v5, v1, v3
	s_waitcnt vmcnt(0)
	v_mad_u64_u32 v[0:1], s[16:17], v0, 24, v[6:7]
	v_mov_b32_e32 v4, v1
	v_mad_u64_u32 v[4:5], s[16:17], v5, 24, v[4:5]
	v_mov_b32_e32 v1, v4
	global_load_dwordx2 v[0:1], v[0:1], off glc
	s_waitcnt vmcnt(0)
	global_atomic_cmpswap_x2 v[4:5], v51, v[0:3], s[8:9] offset:24 glc
	s_waitcnt vmcnt(0)
	buffer_invl2
	buffer_wbinvl1_vol
	v_cmp_eq_u64_e32 vcc, v[4:5], v[2:3]
	s_or_b64 s[14:15], vcc, s[14:15]
	s_andn2_b64 exec, exec, s[14:15]
	s_cbranch_execnz .LBB3_702
; %bb.703:                              ;   in Loop: Header=BB3_3 Depth=1
	s_or_b64 exec, exec, s[14:15]
.LBB3_704:                              ;   in Loop: Header=BB3_3 Depth=1
	s_or_b64 exec, exec, s[12:13]
.LBB3_705:                              ;   in Loop: Header=BB3_3 Depth=1
	s_or_b64 exec, exec, s[10:11]
	global_load_dwordx2 v[6:7], v51, s[8:9] offset:40
	global_load_dwordx4 v[0:3], v51, s[8:9]
	v_readfirstlane_b32 s10, v4
	v_readfirstlane_b32 s11, v5
	s_mov_b64 s[12:13], exec
	s_waitcnt vmcnt(1)
	v_readfirstlane_b32 s14, v6
	v_readfirstlane_b32 s15, v7
	s_and_b64 s[14:15], s[10:11], s[14:15]
	s_mul_i32 s16, s15, 24
	s_mul_hi_u32 s17, s14, 24
	s_mul_i32 s22, s14, 24
	s_add_i32 s16, s17, s16
	v_mov_b32_e32 v5, s16
	s_waitcnt vmcnt(0)
	v_add_co_u32_e32 v4, vcc, s22, v0
	v_addc_co_u32_e32 v5, vcc, v1, v5, vcc
	s_and_saveexec_b64 s[16:17], s[4:5]
	s_cbranch_execz .LBB3_707
; %bb.706:                              ;   in Loop: Header=BB3_3 Depth=1
	v_pk_mov_b32 v[40:41], s[12:13], s[12:13] op_sel:[0,1]
	global_store_dwordx4 v[4:5], v[40:43], off offset:8
.LBB3_707:                              ;   in Loop: Header=BB3_3 Depth=1
	s_or_b64 exec, exec, s[16:17]
	s_lshl_b64 s[12:13], s[14:15], 12
	v_mov_b32_e32 v7, s13
	v_add_co_u32_e32 v6, vcc, s12, v2
	s_mov_b32 s29, s28
	v_addc_co_u32_e32 v7, vcc, v3, v7, vcc
	s_mov_b32 s30, s28
	s_mov_b32 s31, s28
	v_pk_mov_b32 v[8:9], s[28:29], s[28:29] op_sel:[0,1]
	v_and_or_b32 v52, v52, s71, 32
	v_readfirstlane_b32 s12, v6
	v_readfirstlane_b32 s13, v7
	v_pk_mov_b32 v[10:11], s[30:31], s[30:31] op_sel:[0,1]
	s_nop 3
	global_store_dwordx4 v27, v[52:55], s[12:13]
	global_store_dwordx4 v27, v[8:11], s[12:13] offset:16
	global_store_dwordx4 v27, v[8:11], s[12:13] offset:32
	;; [unrolled: 1-line block ×3, first 2 shown]
	s_and_saveexec_b64 s[12:13], s[4:5]
	s_cbranch_execz .LBB3_715
; %bb.708:                              ;   in Loop: Header=BB3_3 Depth=1
	global_load_dwordx2 v[12:13], v51, s[8:9] offset:32 glc
	global_load_dwordx2 v[2:3], v51, s[8:9] offset:40
	v_mov_b32_e32 v10, s10
	v_mov_b32_e32 v11, s11
	s_waitcnt vmcnt(0)
	v_readfirstlane_b32 s14, v2
	v_readfirstlane_b32 s15, v3
	s_and_b64 s[14:15], s[14:15], s[10:11]
	s_mul_i32 s15, s15, 24
	s_mul_hi_u32 s16, s14, 24
	s_mul_i32 s14, s14, 24
	s_add_i32 s15, s16, s15
	v_mov_b32_e32 v2, s15
	v_add_co_u32_e32 v8, vcc, s14, v0
	v_addc_co_u32_e32 v9, vcc, v1, v2, vcc
	global_store_dwordx2 v[8:9], v[12:13], off
	buffer_wbl2
	s_waitcnt vmcnt(0)
	global_atomic_cmpswap_x2 v[2:3], v51, v[10:13], s[8:9] offset:32 glc
	s_waitcnt vmcnt(0)
	v_cmp_ne_u64_e32 vcc, v[2:3], v[12:13]
	s_and_saveexec_b64 s[14:15], vcc
	s_cbranch_execz .LBB3_711
; %bb.709:                              ;   in Loop: Header=BB3_3 Depth=1
	s_mov_b64 s[16:17], 0
.LBB3_710:                              ;   Parent Loop BB3_3 Depth=1
                                        ; =>  This Inner Loop Header: Depth=2
	s_sleep 1
	global_store_dwordx2 v[8:9], v[2:3], off
	v_mov_b32_e32 v0, s10
	v_mov_b32_e32 v1, s11
	buffer_wbl2
	s_waitcnt vmcnt(0)
	global_atomic_cmpswap_x2 v[0:1], v51, v[0:3], s[8:9] offset:32 glc
	s_waitcnt vmcnt(0)
	v_cmp_eq_u64_e32 vcc, v[0:1], v[2:3]
	s_or_b64 s[16:17], vcc, s[16:17]
	v_pk_mov_b32 v[2:3], v[0:1], v[0:1] op_sel:[0,1]
	s_andn2_b64 exec, exec, s[16:17]
	s_cbranch_execnz .LBB3_710
.LBB3_711:                              ;   in Loop: Header=BB3_3 Depth=1
	s_or_b64 exec, exec, s[14:15]
	global_load_dwordx2 v[0:1], v51, s[8:9] offset:16
	s_mov_b64 s[16:17], exec
	v_mbcnt_lo_u32_b32 v2, s16, 0
	v_mbcnt_hi_u32_b32 v2, s17, v2
	v_cmp_eq_u32_e32 vcc, 0, v2
	s_and_saveexec_b64 s[14:15], vcc
	s_cbranch_execz .LBB3_713
; %bb.712:                              ;   in Loop: Header=BB3_3 Depth=1
	s_bcnt1_i32_b64 s16, s[16:17]
	v_mov_b32_e32 v50, s16
	buffer_wbl2
	s_waitcnt vmcnt(0)
	global_atomic_add_x2 v[0:1], v[50:51], off offset:8
.LBB3_713:                              ;   in Loop: Header=BB3_3 Depth=1
	s_or_b64 exec, exec, s[14:15]
	s_waitcnt vmcnt(0)
	global_load_dwordx2 v[2:3], v[0:1], off offset:16
	s_waitcnt vmcnt(0)
	v_cmp_eq_u64_e32 vcc, 0, v[2:3]
	s_cbranch_vccnz .LBB3_715
; %bb.714:                              ;   in Loop: Header=BB3_3 Depth=1
	global_load_dword v50, v[0:1], off offset:24
	s_waitcnt vmcnt(0)
	v_and_b32_e32 v0, 0xffffff, v50
	v_readfirstlane_b32 m0, v0
	buffer_wbl2
	global_store_dwordx2 v[2:3], v[50:51], off
	s_sendmsg sendmsg(MSG_INTERRUPT)
.LBB3_715:                              ;   in Loop: Header=BB3_3 Depth=1
	s_or_b64 exec, exec, s[12:13]
	v_add_co_u32_e32 v0, vcc, v6, v27
	v_addc_co_u32_e32 v1, vcc, 0, v7, vcc
	s_branch .LBB3_719
.LBB3_716:                              ;   in Loop: Header=BB3_719 Depth=2
	s_or_b64 exec, exec, s[12:13]
	v_readfirstlane_b32 s12, v2
	s_cmp_eq_u32 s12, 0
	s_cbranch_scc1 .LBB3_718
; %bb.717:                              ;   in Loop: Header=BB3_719 Depth=2
	s_sleep 1
	s_cbranch_execnz .LBB3_719
	s_branch .LBB3_721
.LBB3_718:                              ;   in Loop: Header=BB3_3 Depth=1
	s_branch .LBB3_721
.LBB3_719:                              ;   Parent Loop BB3_3 Depth=1
                                        ; =>  This Inner Loop Header: Depth=2
	v_mov_b32_e32 v2, 1
	s_and_saveexec_b64 s[12:13], s[4:5]
	s_cbranch_execz .LBB3_716
; %bb.720:                              ;   in Loop: Header=BB3_719 Depth=2
	global_load_dword v2, v[4:5], off offset:20 glc
	s_waitcnt vmcnt(0)
	buffer_invl2
	buffer_wbinvl1_vol
	v_and_b32_e32 v2, 1, v2
	s_branch .LBB3_716
.LBB3_721:                              ;   in Loop: Header=BB3_3 Depth=1
	global_load_dwordx2 v[0:1], v[0:1], off
	s_and_saveexec_b64 s[12:13], s[4:5]
	s_cbranch_execz .LBB3_725
; %bb.722:                              ;   in Loop: Header=BB3_3 Depth=1
	global_load_dwordx2 v[6:7], v51, s[8:9] offset:40
	global_load_dwordx2 v[8:9], v51, s[8:9] offset:24 glc
	global_load_dwordx2 v[10:11], v51, s[8:9]
	v_mov_b32_e32 v3, s11
	s_waitcnt vmcnt(2)
	v_add_co_u32_e32 v5, vcc, 1, v6
	v_addc_co_u32_e32 v12, vcc, 0, v7, vcc
	v_add_co_u32_e32 v2, vcc, s10, v5
	v_addc_co_u32_e32 v3, vcc, v12, v3, vcc
	v_cmp_eq_u64_e32 vcc, 0, v[2:3]
	v_cndmask_b32_e32 v3, v3, v12, vcc
	v_cndmask_b32_e32 v2, v2, v5, vcc
	v_and_b32_e32 v5, v3, v7
	v_and_b32_e32 v6, v2, v6
	v_mul_lo_u32 v5, v5, 24
	v_mul_hi_u32 v7, v6, 24
	v_mul_lo_u32 v6, v6, 24
	v_add_u32_e32 v5, v7, v5
	s_waitcnt vmcnt(0)
	v_add_co_u32_e32 v6, vcc, v10, v6
	v_addc_co_u32_e32 v7, vcc, v11, v5, vcc
	v_mov_b32_e32 v4, v8
	global_store_dwordx2 v[6:7], v[8:9], off
	v_mov_b32_e32 v5, v9
	buffer_wbl2
	s_waitcnt vmcnt(0)
	global_atomic_cmpswap_x2 v[4:5], v51, v[2:5], s[8:9] offset:24 glc
	s_waitcnt vmcnt(0)
	v_cmp_ne_u64_e32 vcc, v[4:5], v[8:9]
	s_and_b64 exec, exec, vcc
	s_cbranch_execz .LBB3_725
; %bb.723:                              ;   in Loop: Header=BB3_3 Depth=1
	s_mov_b64 s[4:5], 0
.LBB3_724:                              ;   Parent Loop BB3_3 Depth=1
                                        ; =>  This Inner Loop Header: Depth=2
	s_sleep 1
	global_store_dwordx2 v[6:7], v[4:5], off
	buffer_wbl2
	s_waitcnt vmcnt(0)
	global_atomic_cmpswap_x2 v[8:9], v51, v[2:5], s[8:9] offset:24 glc
	s_waitcnt vmcnt(0)
	v_cmp_eq_u64_e32 vcc, v[8:9], v[4:5]
	s_or_b64 s[4:5], vcc, s[4:5]
	v_pk_mov_b32 v[4:5], v[8:9], v[8:9] op_sel:[0,1]
	s_andn2_b64 exec, exec, s[4:5]
	s_cbranch_execnz .LBB3_724
.LBB3_725:                              ;   in Loop: Header=BB3_3 Depth=1
	s_or_b64 exec, exec, s[12:13]
	v_readfirstlane_b32 s4, v57
	v_cmp_eq_u32_e64 s[4:5], s4, v57
	v_pk_mov_b32 v[2:3], 0, 0
	s_and_saveexec_b64 s[10:11], s[4:5]
	s_cbranch_execz .LBB3_731
; %bb.726:                              ;   in Loop: Header=BB3_3 Depth=1
	global_load_dwordx2 v[4:5], v51, s[8:9] offset:24 glc
	s_waitcnt vmcnt(0)
	buffer_invl2
	buffer_wbinvl1_vol
	global_load_dwordx2 v[2:3], v51, s[8:9] offset:40
	global_load_dwordx2 v[6:7], v51, s[8:9]
	s_waitcnt vmcnt(1)
	v_and_b32_e32 v2, v2, v4
	v_and_b32_e32 v3, v3, v5
	v_mul_lo_u32 v3, v3, 24
	v_mul_hi_u32 v8, v2, 24
	v_mul_lo_u32 v2, v2, 24
	v_add_u32_e32 v3, v8, v3
	s_waitcnt vmcnt(0)
	v_add_co_u32_e32 v2, vcc, v6, v2
	v_addc_co_u32_e32 v3, vcc, v7, v3, vcc
	global_load_dwordx2 v[2:3], v[2:3], off glc
	s_waitcnt vmcnt(0)
	global_atomic_cmpswap_x2 v[2:3], v51, v[2:5], s[8:9] offset:24 glc
	s_waitcnt vmcnt(0)
	buffer_invl2
	buffer_wbinvl1_vol
	v_cmp_ne_u64_e32 vcc, v[2:3], v[4:5]
	s_and_saveexec_b64 s[12:13], vcc
	s_cbranch_execz .LBB3_730
; %bb.727:                              ;   in Loop: Header=BB3_3 Depth=1
	s_mov_b64 s[14:15], 0
.LBB3_728:                              ;   Parent Loop BB3_3 Depth=1
                                        ; =>  This Inner Loop Header: Depth=2
	s_sleep 1
	global_load_dwordx2 v[6:7], v51, s[8:9] offset:40
	global_load_dwordx2 v[8:9], v51, s[8:9]
	v_pk_mov_b32 v[4:5], v[2:3], v[2:3] op_sel:[0,1]
	s_waitcnt vmcnt(1)
	v_and_b32_e32 v2, v6, v4
	s_waitcnt vmcnt(0)
	v_mad_u64_u32 v[2:3], s[16:17], v2, 24, v[8:9]
	v_and_b32_e32 v7, v7, v5
	v_mov_b32_e32 v6, v3
	v_mad_u64_u32 v[6:7], s[16:17], v7, 24, v[6:7]
	v_mov_b32_e32 v3, v6
	global_load_dwordx2 v[2:3], v[2:3], off glc
	s_waitcnt vmcnt(0)
	global_atomic_cmpswap_x2 v[2:3], v51, v[2:5], s[8:9] offset:24 glc
	s_waitcnt vmcnt(0)
	buffer_invl2
	buffer_wbinvl1_vol
	v_cmp_eq_u64_e32 vcc, v[2:3], v[4:5]
	s_or_b64 s[14:15], vcc, s[14:15]
	s_andn2_b64 exec, exec, s[14:15]
	s_cbranch_execnz .LBB3_728
; %bb.729:                              ;   in Loop: Header=BB3_3 Depth=1
	s_or_b64 exec, exec, s[14:15]
.LBB3_730:                              ;   in Loop: Header=BB3_3 Depth=1
	s_or_b64 exec, exec, s[12:13]
.LBB3_731:                              ;   in Loop: Header=BB3_3 Depth=1
	s_or_b64 exec, exec, s[10:11]
	global_load_dwordx2 v[8:9], v51, s[8:9] offset:40
	global_load_dwordx4 v[4:7], v51, s[8:9]
	v_readfirstlane_b32 s10, v2
	v_readfirstlane_b32 s11, v3
	s_mov_b64 s[14:15], exec
	s_waitcnt vmcnt(1)
	v_readfirstlane_b32 s12, v8
	v_readfirstlane_b32 s13, v9
	s_and_b64 s[12:13], s[10:11], s[12:13]
	s_mul_i32 s16, s13, 24
	s_mul_hi_u32 s17, s12, 24
	s_mul_i32 s22, s12, 24
	s_add_i32 s16, s17, s16
	v_mov_b32_e32 v2, s16
	s_waitcnt vmcnt(0)
	v_add_co_u32_e32 v8, vcc, s22, v4
	v_addc_co_u32_e32 v9, vcc, v5, v2, vcc
	s_and_saveexec_b64 s[16:17], s[4:5]
	s_cbranch_execz .LBB3_733
; %bb.732:                              ;   in Loop: Header=BB3_3 Depth=1
	v_pk_mov_b32 v[40:41], s[14:15], s[14:15] op_sel:[0,1]
	global_store_dwordx4 v[8:9], v[40:43], off offset:8
.LBB3_733:                              ;   in Loop: Header=BB3_3 Depth=1
	s_or_b64 exec, exec, s[16:17]
	v_mul_lo_u32 v2, v28, v26
	v_cvt_f32_u32_e32 v3, v2
	v_add_u32_e32 v10, v28, v26
	v_sub_u32_e32 v11, v26, v28
	v_mul_lo_u32 v10, v10, v11
	v_rcp_iflag_f32_e32 v3, v3
	v_sub_u32_e32 v11, 0, v2
	s_lshl_b64 s[12:13], s[12:13], 12
	v_mov_b32_e32 v12, s13
	v_mul_f32_e32 v3, 0x4f7ffffe, v3
	v_cvt_u32_f32_e32 v3, v3
	s_mov_b32 s29, s28
	s_mov_b32 s30, s28
	;; [unrolled: 1-line block ×3, first 2 shown]
	v_mul_lo_u32 v11, v11, v3
	v_mul_hi_u32 v11, v3, v11
	v_add_u32_e32 v3, v3, v11
	v_mul_hi_u32 v3, v10, v3
	v_mul_lo_u32 v11, v3, v2
	v_sub_u32_e32 v10, v10, v11
	v_add_u32_e32 v13, 1, v3
	v_cmp_ge_u32_e32 vcc, v10, v2
	v_sub_u32_e32 v11, v10, v2
	v_cndmask_b32_e32 v3, v3, v13, vcc
	v_cndmask_b32_e32 v10, v10, v11, vcc
	v_add_u32_e32 v11, 1, v3
	v_cmp_ge_u32_e32 vcc, v10, v2
	v_cndmask_b32_e32 v2, v3, v11, vcc
	v_cvt_f32_u32_e32 v2, v2
	v_add_co_u32_e32 v10, vcc, s12, v6
	v_addc_co_u32_e32 v11, vcc, v7, v12, vcc
	v_pk_mov_b32 v[12:13], s[28:29], s[28:29] op_sel:[0,1]
	v_and_or_b32 v0, v0, s71, 32
	v_cvt_f64_f32_e32 v[2:3], v2
	v_readfirstlane_b32 s12, v10
	v_readfirstlane_b32 s13, v11
	v_pk_mov_b32 v[14:15], s[30:31], s[30:31] op_sel:[0,1]
	s_nop 3
	global_store_dwordx4 v27, v[0:3], s[12:13]
	global_store_dwordx4 v27, v[12:15], s[12:13] offset:16
	global_store_dwordx4 v27, v[12:15], s[12:13] offset:32
	;; [unrolled: 1-line block ×3, first 2 shown]
	s_and_saveexec_b64 s[12:13], s[4:5]
	s_cbranch_execz .LBB3_741
; %bb.734:                              ;   in Loop: Header=BB3_3 Depth=1
	global_load_dwordx2 v[14:15], v51, s[8:9] offset:32 glc
	global_load_dwordx2 v[0:1], v51, s[8:9] offset:40
	v_mov_b32_e32 v12, s10
	v_mov_b32_e32 v13, s11
	s_waitcnt vmcnt(0)
	v_readfirstlane_b32 s14, v0
	v_readfirstlane_b32 s15, v1
	s_and_b64 s[14:15], s[14:15], s[10:11]
	s_mul_i32 s15, s15, 24
	s_mul_hi_u32 s16, s14, 24
	s_mul_i32 s14, s14, 24
	s_add_i32 s15, s16, s15
	v_mov_b32_e32 v1, s15
	v_add_co_u32_e32 v0, vcc, s14, v4
	v_addc_co_u32_e32 v1, vcc, v5, v1, vcc
	global_store_dwordx2 v[0:1], v[14:15], off
	buffer_wbl2
	s_waitcnt vmcnt(0)
	global_atomic_cmpswap_x2 v[6:7], v51, v[12:15], s[8:9] offset:32 glc
	s_waitcnt vmcnt(0)
	v_cmp_ne_u64_e32 vcc, v[6:7], v[14:15]
	s_and_saveexec_b64 s[14:15], vcc
	s_cbranch_execz .LBB3_737
; %bb.735:                              ;   in Loop: Header=BB3_3 Depth=1
	s_mov_b64 s[16:17], 0
.LBB3_736:                              ;   Parent Loop BB3_3 Depth=1
                                        ; =>  This Inner Loop Header: Depth=2
	s_sleep 1
	global_store_dwordx2 v[0:1], v[6:7], off
	v_mov_b32_e32 v4, s10
	v_mov_b32_e32 v5, s11
	buffer_wbl2
	s_waitcnt vmcnt(0)
	global_atomic_cmpswap_x2 v[4:5], v51, v[4:7], s[8:9] offset:32 glc
	s_waitcnt vmcnt(0)
	v_cmp_eq_u64_e32 vcc, v[4:5], v[6:7]
	s_or_b64 s[16:17], vcc, s[16:17]
	v_pk_mov_b32 v[6:7], v[4:5], v[4:5] op_sel:[0,1]
	s_andn2_b64 exec, exec, s[16:17]
	s_cbranch_execnz .LBB3_736
.LBB3_737:                              ;   in Loop: Header=BB3_3 Depth=1
	s_or_b64 exec, exec, s[14:15]
	global_load_dwordx2 v[0:1], v51, s[8:9] offset:16
	s_mov_b64 s[16:17], exec
	v_mbcnt_lo_u32_b32 v4, s16, 0
	v_mbcnt_hi_u32_b32 v4, s17, v4
	v_cmp_eq_u32_e32 vcc, 0, v4
	s_and_saveexec_b64 s[14:15], vcc
	s_cbranch_execz .LBB3_739
; %bb.738:                              ;   in Loop: Header=BB3_3 Depth=1
	s_bcnt1_i32_b64 s16, s[16:17]
	v_mov_b32_e32 v50, s16
	buffer_wbl2
	s_waitcnt vmcnt(0)
	global_atomic_add_x2 v[0:1], v[50:51], off offset:8
.LBB3_739:                              ;   in Loop: Header=BB3_3 Depth=1
	s_or_b64 exec, exec, s[14:15]
	s_waitcnt vmcnt(0)
	global_load_dwordx2 v[4:5], v[0:1], off offset:16
	s_waitcnt vmcnt(0)
	v_cmp_eq_u64_e32 vcc, 0, v[4:5]
	s_cbranch_vccnz .LBB3_741
; %bb.740:                              ;   in Loop: Header=BB3_3 Depth=1
	global_load_dword v50, v[0:1], off offset:24
	s_waitcnt vmcnt(0)
	v_and_b32_e32 v0, 0xffffff, v50
	v_readfirstlane_b32 m0, v0
	buffer_wbl2
	global_store_dwordx2 v[4:5], v[50:51], off
	s_sendmsg sendmsg(MSG_INTERRUPT)
.LBB3_741:                              ;   in Loop: Header=BB3_3 Depth=1
	s_or_b64 exec, exec, s[12:13]
	v_add_co_u32_e32 v0, vcc, v10, v27
	v_addc_co_u32_e32 v1, vcc, 0, v11, vcc
	s_branch .LBB3_745
.LBB3_742:                              ;   in Loop: Header=BB3_745 Depth=2
	s_or_b64 exec, exec, s[12:13]
	v_readfirstlane_b32 s12, v4
	s_cmp_eq_u32 s12, 0
	s_cbranch_scc1 .LBB3_744
; %bb.743:                              ;   in Loop: Header=BB3_745 Depth=2
	s_sleep 1
	s_cbranch_execnz .LBB3_745
	s_branch .LBB3_747
.LBB3_744:                              ;   in Loop: Header=BB3_3 Depth=1
	s_branch .LBB3_747
.LBB3_745:                              ;   Parent Loop BB3_3 Depth=1
                                        ; =>  This Inner Loop Header: Depth=2
	v_mov_b32_e32 v4, 1
	s_and_saveexec_b64 s[12:13], s[4:5]
	s_cbranch_execz .LBB3_742
; %bb.746:                              ;   in Loop: Header=BB3_745 Depth=2
	global_load_dword v4, v[8:9], off offset:20 glc
	s_waitcnt vmcnt(0)
	buffer_invl2
	buffer_wbinvl1_vol
	v_and_b32_e32 v4, 1, v4
	s_branch .LBB3_742
.LBB3_747:                              ;   in Loop: Header=BB3_3 Depth=1
	global_load_dwordx2 v[0:1], v[0:1], off
	s_and_saveexec_b64 s[12:13], s[4:5]
	s_cbranch_execz .LBB3_751
; %bb.748:                              ;   in Loop: Header=BB3_3 Depth=1
	global_load_dwordx2 v[8:9], v51, s[8:9] offset:40
	global_load_dwordx2 v[10:11], v51, s[8:9] offset:24 glc
	global_load_dwordx2 v[12:13], v51, s[8:9]
	v_mov_b32_e32 v5, s11
	s_waitcnt vmcnt(2)
	v_add_co_u32_e32 v7, vcc, 1, v8
	v_addc_co_u32_e32 v14, vcc, 0, v9, vcc
	v_add_co_u32_e32 v4, vcc, s10, v7
	v_addc_co_u32_e32 v5, vcc, v14, v5, vcc
	v_cmp_eq_u64_e32 vcc, 0, v[4:5]
	v_cndmask_b32_e32 v5, v5, v14, vcc
	v_cndmask_b32_e32 v4, v4, v7, vcc
	v_and_b32_e32 v7, v5, v9
	v_and_b32_e32 v8, v4, v8
	v_mul_lo_u32 v7, v7, 24
	v_mul_hi_u32 v9, v8, 24
	v_mul_lo_u32 v8, v8, 24
	v_add_u32_e32 v7, v9, v7
	s_waitcnt vmcnt(0)
	v_add_co_u32_e32 v8, vcc, v12, v8
	v_addc_co_u32_e32 v9, vcc, v13, v7, vcc
	v_mov_b32_e32 v6, v10
	global_store_dwordx2 v[8:9], v[10:11], off
	v_mov_b32_e32 v7, v11
	buffer_wbl2
	s_waitcnt vmcnt(0)
	global_atomic_cmpswap_x2 v[6:7], v51, v[4:7], s[8:9] offset:24 glc
	s_waitcnt vmcnt(0)
	v_cmp_ne_u64_e32 vcc, v[6:7], v[10:11]
	s_and_b64 exec, exec, vcc
	s_cbranch_execz .LBB3_751
; %bb.749:                              ;   in Loop: Header=BB3_3 Depth=1
	s_mov_b64 s[4:5], 0
.LBB3_750:                              ;   Parent Loop BB3_3 Depth=1
                                        ; =>  This Inner Loop Header: Depth=2
	s_sleep 1
	global_store_dwordx2 v[8:9], v[6:7], off
	buffer_wbl2
	s_waitcnt vmcnt(0)
	global_atomic_cmpswap_x2 v[10:11], v51, v[4:7], s[8:9] offset:24 glc
	s_waitcnt vmcnt(0)
	v_cmp_eq_u64_e32 vcc, v[10:11], v[6:7]
	s_or_b64 s[4:5], vcc, s[4:5]
	v_pk_mov_b32 v[6:7], v[10:11], v[10:11] op_sel:[0,1]
	s_andn2_b64 exec, exec, s[4:5]
	s_cbranch_execnz .LBB3_750
.LBB3_751:                              ;   in Loop: Header=BB3_3 Depth=1
	s_or_b64 exec, exec, s[12:13]
	v_readfirstlane_b32 s4, v57
	v_cmp_eq_u32_e64 s[4:5], s4, v57
	v_pk_mov_b32 v[8:9], 0, 0
	s_and_saveexec_b64 s[10:11], s[4:5]
	s_cbranch_execz .LBB3_757
; %bb.752:                              ;   in Loop: Header=BB3_3 Depth=1
	global_load_dwordx2 v[6:7], v51, s[8:9] offset:24 glc
	s_waitcnt vmcnt(0)
	buffer_invl2
	buffer_wbinvl1_vol
	global_load_dwordx2 v[4:5], v51, s[8:9] offset:40
	global_load_dwordx2 v[8:9], v51, s[8:9]
	s_waitcnt vmcnt(1)
	v_and_b32_e32 v4, v4, v6
	v_and_b32_e32 v5, v5, v7
	v_mul_lo_u32 v5, v5, 24
	v_mul_hi_u32 v10, v4, 24
	v_mul_lo_u32 v4, v4, 24
	v_add_u32_e32 v5, v10, v5
	s_waitcnt vmcnt(0)
	v_add_co_u32_e32 v4, vcc, v8, v4
	v_addc_co_u32_e32 v5, vcc, v9, v5, vcc
	global_load_dwordx2 v[4:5], v[4:5], off glc
	s_waitcnt vmcnt(0)
	global_atomic_cmpswap_x2 v[8:9], v51, v[4:7], s[8:9] offset:24 glc
	s_waitcnt vmcnt(0)
	buffer_invl2
	buffer_wbinvl1_vol
	v_cmp_ne_u64_e32 vcc, v[8:9], v[6:7]
	s_and_saveexec_b64 s[12:13], vcc
	s_cbranch_execz .LBB3_756
; %bb.753:                              ;   in Loop: Header=BB3_3 Depth=1
	s_mov_b64 s[14:15], 0
.LBB3_754:                              ;   Parent Loop BB3_3 Depth=1
                                        ; =>  This Inner Loop Header: Depth=2
	s_sleep 1
	global_load_dwordx2 v[4:5], v51, s[8:9] offset:40
	global_load_dwordx2 v[10:11], v51, s[8:9]
	v_pk_mov_b32 v[6:7], v[8:9], v[8:9] op_sel:[0,1]
	s_waitcnt vmcnt(1)
	v_and_b32_e32 v4, v4, v6
	v_and_b32_e32 v9, v5, v7
	s_waitcnt vmcnt(0)
	v_mad_u64_u32 v[4:5], s[16:17], v4, 24, v[10:11]
	v_mov_b32_e32 v8, v5
	v_mad_u64_u32 v[8:9], s[16:17], v9, 24, v[8:9]
	v_mov_b32_e32 v5, v8
	global_load_dwordx2 v[4:5], v[4:5], off glc
	s_waitcnt vmcnt(0)
	global_atomic_cmpswap_x2 v[8:9], v51, v[4:7], s[8:9] offset:24 glc
	s_waitcnt vmcnt(0)
	buffer_invl2
	buffer_wbinvl1_vol
	v_cmp_eq_u64_e32 vcc, v[8:9], v[6:7]
	s_or_b64 s[14:15], vcc, s[14:15]
	s_andn2_b64 exec, exec, s[14:15]
	s_cbranch_execnz .LBB3_754
; %bb.755:                              ;   in Loop: Header=BB3_3 Depth=1
	s_or_b64 exec, exec, s[14:15]
.LBB3_756:                              ;   in Loop: Header=BB3_3 Depth=1
	s_or_b64 exec, exec, s[12:13]
.LBB3_757:                              ;   in Loop: Header=BB3_3 Depth=1
	s_or_b64 exec, exec, s[10:11]
	global_load_dwordx2 v[10:11], v51, s[8:9] offset:40
	global_load_dwordx4 v[4:7], v51, s[8:9]
	v_readfirstlane_b32 s10, v8
	v_readfirstlane_b32 s11, v9
	s_mov_b64 s[12:13], exec
	s_waitcnt vmcnt(1)
	v_readfirstlane_b32 s14, v10
	v_readfirstlane_b32 s15, v11
	s_and_b64 s[14:15], s[10:11], s[14:15]
	s_mul_i32 s16, s15, 24
	s_mul_hi_u32 s17, s14, 24
	s_mul_i32 s22, s14, 24
	s_add_i32 s16, s17, s16
	v_mov_b32_e32 v9, s16
	s_waitcnt vmcnt(0)
	v_add_co_u32_e32 v8, vcc, s22, v4
	v_addc_co_u32_e32 v9, vcc, v5, v9, vcc
	s_and_saveexec_b64 s[16:17], s[4:5]
	s_cbranch_execz .LBB3_759
; %bb.758:                              ;   in Loop: Header=BB3_3 Depth=1
	v_pk_mov_b32 v[40:41], s[12:13], s[12:13] op_sel:[0,1]
	global_store_dwordx4 v[8:9], v[40:43], off offset:8
.LBB3_759:                              ;   in Loop: Header=BB3_3 Depth=1
	s_or_b64 exec, exec, s[16:17]
	s_lshl_b64 s[12:13], s[14:15], 12
	v_mov_b32_e32 v10, s13
	v_add_co_u32_e32 v6, vcc, s12, v6
	v_addc_co_u32_e32 v7, vcc, v7, v10, vcc
	v_and_or_b32 v0, v0, s72, 34
	v_readfirstlane_b32 s12, v6
	v_readfirstlane_b32 s13, v7
	s_mov_b32 s29, s28
	s_mov_b32 s30, s28
	;; [unrolled: 1-line block ×3, first 2 shown]
	s_nop 1
	global_store_dwordx4 v27, v[0:3], s[12:13]
	s_nop 0
	v_pk_mov_b32 v[0:1], s[28:29], s[28:29] op_sel:[0,1]
	v_pk_mov_b32 v[2:3], s[30:31], s[30:31] op_sel:[0,1]
	global_store_dwordx4 v27, v[0:3], s[12:13] offset:16
	global_store_dwordx4 v27, v[0:3], s[12:13] offset:32
	global_store_dwordx4 v27, v[0:3], s[12:13] offset:48
	s_and_saveexec_b64 s[12:13], s[4:5]
	s_cbranch_execz .LBB3_767
; %bb.760:                              ;   in Loop: Header=BB3_3 Depth=1
	global_load_dwordx2 v[12:13], v51, s[8:9] offset:32 glc
	global_load_dwordx2 v[0:1], v51, s[8:9] offset:40
	v_mov_b32_e32 v10, s10
	v_mov_b32_e32 v11, s11
	s_waitcnt vmcnt(0)
	v_readfirstlane_b32 s14, v0
	v_readfirstlane_b32 s15, v1
	s_and_b64 s[14:15], s[14:15], s[10:11]
	s_mul_i32 s15, s15, 24
	s_mul_hi_u32 s16, s14, 24
	s_mul_i32 s14, s14, 24
	s_add_i32 s15, s16, s15
	v_mov_b32_e32 v0, s15
	v_add_co_u32_e32 v4, vcc, s14, v4
	v_addc_co_u32_e32 v5, vcc, v5, v0, vcc
	global_store_dwordx2 v[4:5], v[12:13], off
	buffer_wbl2
	s_waitcnt vmcnt(0)
	global_atomic_cmpswap_x2 v[2:3], v51, v[10:13], s[8:9] offset:32 glc
	s_waitcnt vmcnt(0)
	v_cmp_ne_u64_e32 vcc, v[2:3], v[12:13]
	s_and_saveexec_b64 s[14:15], vcc
	s_cbranch_execz .LBB3_763
; %bb.761:                              ;   in Loop: Header=BB3_3 Depth=1
	s_mov_b64 s[16:17], 0
.LBB3_762:                              ;   Parent Loop BB3_3 Depth=1
                                        ; =>  This Inner Loop Header: Depth=2
	s_sleep 1
	global_store_dwordx2 v[4:5], v[2:3], off
	v_mov_b32_e32 v0, s10
	v_mov_b32_e32 v1, s11
	buffer_wbl2
	s_waitcnt vmcnt(0)
	global_atomic_cmpswap_x2 v[0:1], v51, v[0:3], s[8:9] offset:32 glc
	s_waitcnt vmcnt(0)
	v_cmp_eq_u64_e32 vcc, v[0:1], v[2:3]
	s_or_b64 s[16:17], vcc, s[16:17]
	v_pk_mov_b32 v[2:3], v[0:1], v[0:1] op_sel:[0,1]
	s_andn2_b64 exec, exec, s[16:17]
	s_cbranch_execnz .LBB3_762
.LBB3_763:                              ;   in Loop: Header=BB3_3 Depth=1
	s_or_b64 exec, exec, s[14:15]
	global_load_dwordx2 v[0:1], v51, s[8:9] offset:16
	s_mov_b64 s[16:17], exec
	v_mbcnt_lo_u32_b32 v2, s16, 0
	v_mbcnt_hi_u32_b32 v2, s17, v2
	v_cmp_eq_u32_e32 vcc, 0, v2
	s_and_saveexec_b64 s[14:15], vcc
	s_cbranch_execz .LBB3_765
; %bb.764:                              ;   in Loop: Header=BB3_3 Depth=1
	s_bcnt1_i32_b64 s16, s[16:17]
	v_mov_b32_e32 v50, s16
	buffer_wbl2
	s_waitcnt vmcnt(0)
	global_atomic_add_x2 v[0:1], v[50:51], off offset:8
.LBB3_765:                              ;   in Loop: Header=BB3_3 Depth=1
	s_or_b64 exec, exec, s[14:15]
	s_waitcnt vmcnt(0)
	global_load_dwordx2 v[2:3], v[0:1], off offset:16
	s_waitcnt vmcnt(0)
	v_cmp_eq_u64_e32 vcc, 0, v[2:3]
	s_cbranch_vccnz .LBB3_767
; %bb.766:                              ;   in Loop: Header=BB3_3 Depth=1
	global_load_dword v50, v[0:1], off offset:24
	s_waitcnt vmcnt(0)
	v_and_b32_e32 v0, 0xffffff, v50
	v_readfirstlane_b32 m0, v0
	buffer_wbl2
	global_store_dwordx2 v[2:3], v[50:51], off
	s_sendmsg sendmsg(MSG_INTERRUPT)
.LBB3_767:                              ;   in Loop: Header=BB3_3 Depth=1
	s_or_b64 exec, exec, s[12:13]
	v_add_co_u32_e32 v0, vcc, v6, v27
	v_addc_co_u32_e32 v1, vcc, 0, v7, vcc
	s_branch .LBB3_771
.LBB3_768:                              ;   in Loop: Header=BB3_771 Depth=2
	s_or_b64 exec, exec, s[12:13]
	v_readfirstlane_b32 s12, v2
	s_cmp_eq_u32 s12, 0
	s_cbranch_scc1 .LBB3_770
; %bb.769:                              ;   in Loop: Header=BB3_771 Depth=2
	s_sleep 1
	s_cbranch_execnz .LBB3_771
	s_branch .LBB3_773
.LBB3_770:                              ;   in Loop: Header=BB3_3 Depth=1
	s_branch .LBB3_773
.LBB3_771:                              ;   Parent Loop BB3_3 Depth=1
                                        ; =>  This Inner Loop Header: Depth=2
	v_mov_b32_e32 v2, 1
	s_and_saveexec_b64 s[12:13], s[4:5]
	s_cbranch_execz .LBB3_768
; %bb.772:                              ;   in Loop: Header=BB3_771 Depth=2
	global_load_dword v2, v[8:9], off offset:20 glc
	s_waitcnt vmcnt(0)
	buffer_invl2
	buffer_wbinvl1_vol
	v_and_b32_e32 v2, 1, v2
	s_branch .LBB3_768
.LBB3_773:                              ;   in Loop: Header=BB3_3 Depth=1
	global_load_dwordx2 v[0:1], v[0:1], off
	s_and_saveexec_b64 s[12:13], s[4:5]
	s_cbranch_execz .LBB3_777
; %bb.774:                              ;   in Loop: Header=BB3_3 Depth=1
	global_load_dwordx2 v[6:7], v51, s[8:9] offset:40
	global_load_dwordx2 v[8:9], v51, s[8:9] offset:24 glc
	global_load_dwordx2 v[10:11], v51, s[8:9]
	s_waitcnt vmcnt(3)
	v_mov_b32_e32 v1, s11
	s_waitcnt vmcnt(2)
	v_add_co_u32_e32 v5, vcc, 1, v6
	v_addc_co_u32_e32 v12, vcc, 0, v7, vcc
	v_add_co_u32_e32 v2, vcc, s10, v5
	v_addc_co_u32_e32 v3, vcc, v12, v1, vcc
	v_cmp_eq_u64_e32 vcc, 0, v[2:3]
	v_cndmask_b32_e32 v3, v3, v12, vcc
	v_cndmask_b32_e32 v2, v2, v5, vcc
	v_and_b32_e32 v1, v3, v7
	v_and_b32_e32 v5, v2, v6
	v_mul_lo_u32 v1, v1, 24
	v_mul_hi_u32 v6, v5, 24
	v_mul_lo_u32 v5, v5, 24
	v_add_u32_e32 v1, v6, v1
	s_waitcnt vmcnt(0)
	v_add_co_u32_e32 v6, vcc, v10, v5
	v_addc_co_u32_e32 v7, vcc, v11, v1, vcc
	v_mov_b32_e32 v4, v8
	global_store_dwordx2 v[6:7], v[8:9], off
	v_mov_b32_e32 v5, v9
	buffer_wbl2
	s_waitcnt vmcnt(0)
	global_atomic_cmpswap_x2 v[4:5], v51, v[2:5], s[8:9] offset:24 glc
	s_waitcnt vmcnt(0)
	v_cmp_ne_u64_e32 vcc, v[4:5], v[8:9]
	s_and_b64 exec, exec, vcc
	s_cbranch_execz .LBB3_777
; %bb.775:                              ;   in Loop: Header=BB3_3 Depth=1
	s_mov_b64 s[4:5], 0
.LBB3_776:                              ;   Parent Loop BB3_3 Depth=1
                                        ; =>  This Inner Loop Header: Depth=2
	s_sleep 1
	global_store_dwordx2 v[6:7], v[4:5], off
	buffer_wbl2
	s_waitcnt vmcnt(0)
	global_atomic_cmpswap_x2 v[8:9], v51, v[2:5], s[8:9] offset:24 glc
	s_waitcnt vmcnt(0)
	v_cmp_eq_u64_e32 vcc, v[8:9], v[4:5]
	s_or_b64 s[4:5], vcc, s[4:5]
	v_pk_mov_b32 v[4:5], v[8:9], v[8:9] op_sel:[0,1]
	s_andn2_b64 exec, exec, s[4:5]
	s_cbranch_execnz .LBB3_776
.LBB3_777:                              ;   in Loop: Header=BB3_3 Depth=1
	s_or_b64 exec, exec, s[12:13]
	s_or_b64 exec, exec, s[6:7]
                                        ; implicit-def: $vgpr26
	s_andn2_saveexec_b64 s[6:7], s[20:21]
	s_cbranch_execnz .LBB3_197
	s_branch .LBB3_529
.LBB3_778:                              ;   in Loop: Header=BB3_3 Depth=1
                                        ; implicit-def: $vgpr2_vgpr3
	s_cbranch_execz .LBB3_806
; %bb.779:                              ;   in Loop: Header=BB3_3 Depth=1
	v_readfirstlane_b32 s4, v57
	v_cmp_eq_u32_e64 s[4:5], s4, v57
	s_waitcnt vmcnt(0)
	v_pk_mov_b32 v[2:3], 0, 0
	s_and_saveexec_b64 s[14:15], s[4:5]
	s_cbranch_execz .LBB3_785
; %bb.780:                              ;   in Loop: Header=BB3_3 Depth=1
	global_load_dwordx2 v[4:5], v51, s[12:13] offset:24 glc
	s_waitcnt vmcnt(0)
	buffer_invl2
	buffer_wbinvl1_vol
	global_load_dwordx2 v[2:3], v51, s[12:13] offset:40
	global_load_dwordx2 v[6:7], v51, s[12:13]
	s_waitcnt vmcnt(1)
	v_and_b32_e32 v2, v2, v4
	v_and_b32_e32 v3, v3, v5
	v_mul_lo_u32 v3, v3, 24
	v_mul_hi_u32 v8, v2, 24
	v_mul_lo_u32 v2, v2, 24
	v_add_u32_e32 v3, v8, v3
	s_waitcnt vmcnt(0)
	v_add_co_u32_e32 v2, vcc, v6, v2
	v_addc_co_u32_e32 v3, vcc, v7, v3, vcc
	global_load_dwordx2 v[2:3], v[2:3], off glc
	s_waitcnt vmcnt(0)
	global_atomic_cmpswap_x2 v[2:3], v51, v[2:5], s[12:13] offset:24 glc
	s_waitcnt vmcnt(0)
	buffer_invl2
	buffer_wbinvl1_vol
	v_cmp_ne_u64_e32 vcc, v[2:3], v[4:5]
	s_and_saveexec_b64 s[16:17], vcc
	s_cbranch_execz .LBB3_784
; %bb.781:                              ;   in Loop: Header=BB3_3 Depth=1
	s_mov_b64 s[18:19], 0
.LBB3_782:                              ;   Parent Loop BB3_3 Depth=1
                                        ; =>  This Inner Loop Header: Depth=2
	s_sleep 1
	global_load_dwordx2 v[6:7], v51, s[12:13] offset:40
	global_load_dwordx2 v[8:9], v51, s[12:13]
	v_pk_mov_b32 v[4:5], v[2:3], v[2:3] op_sel:[0,1]
	s_waitcnt vmcnt(1)
	v_and_b32_e32 v2, v6, v4
	s_waitcnt vmcnt(0)
	v_mad_u64_u32 v[2:3], s[20:21], v2, 24, v[8:9]
	v_and_b32_e32 v7, v7, v5
	v_mov_b32_e32 v6, v3
	v_mad_u64_u32 v[6:7], s[20:21], v7, 24, v[6:7]
	v_mov_b32_e32 v3, v6
	global_load_dwordx2 v[2:3], v[2:3], off glc
	s_waitcnt vmcnt(0)
	global_atomic_cmpswap_x2 v[2:3], v51, v[2:5], s[12:13] offset:24 glc
	s_waitcnt vmcnt(0)
	buffer_invl2
	buffer_wbinvl1_vol
	v_cmp_eq_u64_e32 vcc, v[2:3], v[4:5]
	s_or_b64 s[18:19], vcc, s[18:19]
	s_andn2_b64 exec, exec, s[18:19]
	s_cbranch_execnz .LBB3_782
; %bb.783:                              ;   in Loop: Header=BB3_3 Depth=1
	s_or_b64 exec, exec, s[18:19]
.LBB3_784:                              ;   in Loop: Header=BB3_3 Depth=1
	s_or_b64 exec, exec, s[16:17]
.LBB3_785:                              ;   in Loop: Header=BB3_3 Depth=1
	s_or_b64 exec, exec, s[14:15]
	global_load_dwordx2 v[8:9], v51, s[12:13] offset:40
	global_load_dwordx4 v[4:7], v51, s[12:13]
	v_readfirstlane_b32 s14, v2
	v_readfirstlane_b32 s15, v3
	s_mov_b64 s[16:17], exec
	s_waitcnt vmcnt(1)
	v_readfirstlane_b32 s18, v8
	v_readfirstlane_b32 s19, v9
	s_and_b64 s[18:19], s[14:15], s[18:19]
	s_mul_i32 s20, s19, 24
	s_mul_hi_u32 s21, s18, 24
	s_mul_i32 s22, s18, 24
	s_add_i32 s20, s21, s20
	v_mov_b32_e32 v2, s20
	s_waitcnt vmcnt(0)
	v_add_co_u32_e32 v8, vcc, s22, v4
	v_addc_co_u32_e32 v9, vcc, v5, v2, vcc
	s_and_saveexec_b64 s[20:21], s[4:5]
	s_cbranch_execz .LBB3_787
; %bb.786:                              ;   in Loop: Header=BB3_3 Depth=1
	v_pk_mov_b32 v[40:41], s[16:17], s[16:17] op_sel:[0,1]
	global_store_dwordx4 v[8:9], v[40:43], off offset:8
.LBB3_787:                              ;   in Loop: Header=BB3_3 Depth=1
	s_or_b64 exec, exec, s[20:21]
	s_lshl_b64 s[16:17], s[18:19], 12
	v_mov_b32_e32 v2, s17
	v_add_co_u32_e32 v6, vcc, s16, v6
	v_addc_co_u32_e32 v7, vcc, v7, v2, vcc
	v_and_or_b32 v0, v0, s71, 32
	v_mov_b32_e32 v2, v51
	v_mov_b32_e32 v3, v51
	v_readfirstlane_b32 s16, v6
	v_readfirstlane_b32 s17, v7
	s_mov_b32 s29, s28
	s_mov_b32 s30, s28
	s_mov_b32 s31, s28
	s_nop 1
	global_store_dwordx4 v27, v[0:3], s[16:17]
	s_nop 0
	v_pk_mov_b32 v[0:1], s[28:29], s[28:29] op_sel:[0,1]
	v_pk_mov_b32 v[2:3], s[30:31], s[30:31] op_sel:[0,1]
	global_store_dwordx4 v27, v[0:3], s[16:17] offset:16
	global_store_dwordx4 v27, v[0:3], s[16:17] offset:32
	;; [unrolled: 1-line block ×3, first 2 shown]
	s_and_saveexec_b64 s[16:17], s[4:5]
	s_cbranch_execz .LBB3_795
; %bb.788:                              ;   in Loop: Header=BB3_3 Depth=1
	global_load_dwordx2 v[12:13], v51, s[12:13] offset:32 glc
	global_load_dwordx2 v[0:1], v51, s[12:13] offset:40
	v_mov_b32_e32 v10, s14
	v_mov_b32_e32 v11, s15
	s_waitcnt vmcnt(0)
	v_readfirstlane_b32 s18, v0
	v_readfirstlane_b32 s19, v1
	s_and_b64 s[18:19], s[18:19], s[14:15]
	s_mul_i32 s19, s19, 24
	s_mul_hi_u32 s20, s18, 24
	s_mul_i32 s18, s18, 24
	s_add_i32 s19, s20, s19
	v_mov_b32_e32 v0, s19
	v_add_co_u32_e32 v4, vcc, s18, v4
	v_addc_co_u32_e32 v5, vcc, v5, v0, vcc
	global_store_dwordx2 v[4:5], v[12:13], off
	buffer_wbl2
	s_waitcnt vmcnt(0)
	global_atomic_cmpswap_x2 v[2:3], v51, v[10:13], s[12:13] offset:32 glc
	s_waitcnt vmcnt(0)
	v_cmp_ne_u64_e32 vcc, v[2:3], v[12:13]
	s_and_saveexec_b64 s[18:19], vcc
	s_cbranch_execz .LBB3_791
; %bb.789:                              ;   in Loop: Header=BB3_3 Depth=1
	s_mov_b64 s[20:21], 0
.LBB3_790:                              ;   Parent Loop BB3_3 Depth=1
                                        ; =>  This Inner Loop Header: Depth=2
	s_sleep 1
	global_store_dwordx2 v[4:5], v[2:3], off
	v_mov_b32_e32 v0, s14
	v_mov_b32_e32 v1, s15
	buffer_wbl2
	s_waitcnt vmcnt(0)
	global_atomic_cmpswap_x2 v[0:1], v51, v[0:3], s[12:13] offset:32 glc
	s_waitcnt vmcnt(0)
	v_cmp_eq_u64_e32 vcc, v[0:1], v[2:3]
	s_or_b64 s[20:21], vcc, s[20:21]
	v_pk_mov_b32 v[2:3], v[0:1], v[0:1] op_sel:[0,1]
	s_andn2_b64 exec, exec, s[20:21]
	s_cbranch_execnz .LBB3_790
.LBB3_791:                              ;   in Loop: Header=BB3_3 Depth=1
	s_or_b64 exec, exec, s[18:19]
	global_load_dwordx2 v[0:1], v51, s[12:13] offset:16
	s_mov_b64 s[20:21], exec
	v_mbcnt_lo_u32_b32 v2, s20, 0
	v_mbcnt_hi_u32_b32 v2, s21, v2
	v_cmp_eq_u32_e32 vcc, 0, v2
	s_and_saveexec_b64 s[18:19], vcc
	s_cbranch_execz .LBB3_793
; %bb.792:                              ;   in Loop: Header=BB3_3 Depth=1
	s_bcnt1_i32_b64 s20, s[20:21]
	v_mov_b32_e32 v50, s20
	buffer_wbl2
	s_waitcnt vmcnt(0)
	global_atomic_add_x2 v[0:1], v[50:51], off offset:8
.LBB3_793:                              ;   in Loop: Header=BB3_3 Depth=1
	s_or_b64 exec, exec, s[18:19]
	s_waitcnt vmcnt(0)
	global_load_dwordx2 v[2:3], v[0:1], off offset:16
	s_waitcnt vmcnt(0)
	v_cmp_eq_u64_e32 vcc, 0, v[2:3]
	s_cbranch_vccnz .LBB3_795
; %bb.794:                              ;   in Loop: Header=BB3_3 Depth=1
	global_load_dword v50, v[0:1], off offset:24
	s_waitcnt vmcnt(0)
	v_and_b32_e32 v0, 0xffffff, v50
	v_readfirstlane_b32 m0, v0
	buffer_wbl2
	global_store_dwordx2 v[2:3], v[50:51], off
	s_sendmsg sendmsg(MSG_INTERRUPT)
.LBB3_795:                              ;   in Loop: Header=BB3_3 Depth=1
	s_or_b64 exec, exec, s[16:17]
	v_add_co_u32_e32 v0, vcc, v6, v27
	v_addc_co_u32_e32 v1, vcc, 0, v7, vcc
	s_branch .LBB3_799
.LBB3_796:                              ;   in Loop: Header=BB3_799 Depth=2
	s_or_b64 exec, exec, s[16:17]
	v_readfirstlane_b32 s16, v2
	s_cmp_eq_u32 s16, 0
	s_cbranch_scc1 .LBB3_798
; %bb.797:                              ;   in Loop: Header=BB3_799 Depth=2
	s_sleep 1
	s_cbranch_execnz .LBB3_799
	s_branch .LBB3_801
.LBB3_798:                              ;   in Loop: Header=BB3_3 Depth=1
	s_branch .LBB3_801
.LBB3_799:                              ;   Parent Loop BB3_3 Depth=1
                                        ; =>  This Inner Loop Header: Depth=2
	v_mov_b32_e32 v2, 1
	s_and_saveexec_b64 s[16:17], s[4:5]
	s_cbranch_execz .LBB3_796
; %bb.800:                              ;   in Loop: Header=BB3_799 Depth=2
	global_load_dword v2, v[8:9], off offset:20 glc
	s_waitcnt vmcnt(0)
	buffer_invl2
	buffer_wbinvl1_vol
	v_and_b32_e32 v2, 1, v2
	s_branch .LBB3_796
.LBB3_801:                              ;   in Loop: Header=BB3_3 Depth=1
	global_load_dwordx2 v[2:3], v[0:1], off
	s_and_saveexec_b64 s[16:17], s[4:5]
	s_cbranch_execz .LBB3_805
; %bb.802:                              ;   in Loop: Header=BB3_3 Depth=1
	global_load_dwordx2 v[0:1], v51, s[12:13] offset:40
	global_load_dwordx2 v[8:9], v51, s[12:13] offset:24 glc
	global_load_dwordx2 v[10:11], v51, s[12:13]
	v_mov_b32_e32 v5, s15
	s_waitcnt vmcnt(2)
	v_add_co_u32_e32 v7, vcc, 1, v0
	v_addc_co_u32_e32 v12, vcc, 0, v1, vcc
	v_add_co_u32_e32 v4, vcc, s14, v7
	v_addc_co_u32_e32 v5, vcc, v12, v5, vcc
	v_cmp_eq_u64_e32 vcc, 0, v[4:5]
	v_cndmask_b32_e32 v5, v5, v12, vcc
	v_cndmask_b32_e32 v4, v4, v7, vcc
	v_and_b32_e32 v1, v5, v1
	v_and_b32_e32 v0, v4, v0
	v_mul_lo_u32 v1, v1, 24
	v_mul_hi_u32 v7, v0, 24
	v_mul_lo_u32 v0, v0, 24
	v_add_u32_e32 v1, v7, v1
	s_waitcnt vmcnt(0)
	v_add_co_u32_e32 v0, vcc, v10, v0
	v_addc_co_u32_e32 v1, vcc, v11, v1, vcc
	v_mov_b32_e32 v6, v8
	global_store_dwordx2 v[0:1], v[8:9], off
	v_mov_b32_e32 v7, v9
	buffer_wbl2
	s_waitcnt vmcnt(0)
	global_atomic_cmpswap_x2 v[6:7], v51, v[4:7], s[12:13] offset:24 glc
	s_waitcnt vmcnt(0)
	v_cmp_ne_u64_e32 vcc, v[6:7], v[8:9]
	s_and_b64 exec, exec, vcc
	s_cbranch_execz .LBB3_805
; %bb.803:                              ;   in Loop: Header=BB3_3 Depth=1
	s_mov_b64 s[4:5], 0
.LBB3_804:                              ;   Parent Loop BB3_3 Depth=1
                                        ; =>  This Inner Loop Header: Depth=2
	s_sleep 1
	global_store_dwordx2 v[0:1], v[6:7], off
	buffer_wbl2
	s_waitcnt vmcnt(0)
	global_atomic_cmpswap_x2 v[8:9], v51, v[4:7], s[12:13] offset:24 glc
	s_waitcnt vmcnt(0)
	v_cmp_eq_u64_e32 vcc, v[8:9], v[6:7]
	s_or_b64 s[4:5], vcc, s[4:5]
	v_pk_mov_b32 v[6:7], v[8:9], v[8:9] op_sel:[0,1]
	s_andn2_b64 exec, exec, s[4:5]
	s_cbranch_execnz .LBB3_804
.LBB3_805:                              ;   in Loop: Header=BB3_3 Depth=1
	s_or_b64 exec, exec, s[16:17]
.LBB3_806:                              ;   in Loop: Header=BB3_3 Depth=1
	v_readfirstlane_b32 s4, v57
	v_cmp_eq_u32_e64 s[4:5], s4, v57
	s_waitcnt vmcnt(0)
	v_pk_mov_b32 v[0:1], 0, 0
	s_and_saveexec_b64 s[14:15], s[4:5]
	s_cbranch_execz .LBB3_812
; %bb.807:                              ;   in Loop: Header=BB3_3 Depth=1
	global_load_dwordx2 v[6:7], v51, s[12:13] offset:24 glc
	s_waitcnt vmcnt(0)
	buffer_invl2
	buffer_wbinvl1_vol
	global_load_dwordx2 v[0:1], v51, s[12:13] offset:40
	global_load_dwordx2 v[4:5], v51, s[12:13]
	s_waitcnt vmcnt(1)
	v_and_b32_e32 v0, v0, v6
	v_and_b32_e32 v1, v1, v7
	v_mul_lo_u32 v1, v1, 24
	v_mul_hi_u32 v8, v0, 24
	v_mul_lo_u32 v0, v0, 24
	v_add_u32_e32 v1, v8, v1
	s_waitcnt vmcnt(0)
	v_add_co_u32_e32 v0, vcc, v4, v0
	v_addc_co_u32_e32 v1, vcc, v5, v1, vcc
	global_load_dwordx2 v[4:5], v[0:1], off glc
	s_waitcnt vmcnt(0)
	global_atomic_cmpswap_x2 v[0:1], v51, v[4:7], s[12:13] offset:24 glc
	s_waitcnt vmcnt(0)
	buffer_invl2
	buffer_wbinvl1_vol
	v_cmp_ne_u64_e32 vcc, v[0:1], v[6:7]
	s_and_saveexec_b64 s[16:17], vcc
	s_cbranch_execz .LBB3_811
; %bb.808:                              ;   in Loop: Header=BB3_3 Depth=1
	s_mov_b64 s[18:19], 0
.LBB3_809:                              ;   Parent Loop BB3_3 Depth=1
                                        ; =>  This Inner Loop Header: Depth=2
	s_sleep 1
	global_load_dwordx2 v[4:5], v51, s[12:13] offset:40
	global_load_dwordx2 v[8:9], v51, s[12:13]
	v_pk_mov_b32 v[6:7], v[0:1], v[0:1] op_sel:[0,1]
	s_waitcnt vmcnt(1)
	v_and_b32_e32 v0, v4, v6
	s_waitcnt vmcnt(0)
	v_mad_u64_u32 v[0:1], s[20:21], v0, 24, v[8:9]
	v_and_b32_e32 v5, v5, v7
	v_mov_b32_e32 v4, v1
	v_mad_u64_u32 v[4:5], s[20:21], v5, 24, v[4:5]
	v_mov_b32_e32 v1, v4
	global_load_dwordx2 v[4:5], v[0:1], off glc
	s_waitcnt vmcnt(0)
	global_atomic_cmpswap_x2 v[0:1], v51, v[4:7], s[12:13] offset:24 glc
	s_waitcnt vmcnt(0)
	buffer_invl2
	buffer_wbinvl1_vol
	v_cmp_eq_u64_e32 vcc, v[0:1], v[6:7]
	s_or_b64 s[18:19], vcc, s[18:19]
	s_andn2_b64 exec, exec, s[18:19]
	s_cbranch_execnz .LBB3_809
; %bb.810:                              ;   in Loop: Header=BB3_3 Depth=1
	s_or_b64 exec, exec, s[18:19]
.LBB3_811:                              ;   in Loop: Header=BB3_3 Depth=1
	s_or_b64 exec, exec, s[16:17]
.LBB3_812:                              ;   in Loop: Header=BB3_3 Depth=1
	s_or_b64 exec, exec, s[14:15]
	global_load_dwordx2 v[4:5], v51, s[12:13] offset:40
	global_load_dwordx4 v[6:9], v51, s[12:13]
	v_readfirstlane_b32 s14, v0
	v_readfirstlane_b32 s15, v1
	s_mov_b64 s[16:17], exec
	s_waitcnt vmcnt(1)
	v_readfirstlane_b32 s18, v4
	v_readfirstlane_b32 s19, v5
	s_and_b64 s[18:19], s[14:15], s[18:19]
	s_mul_i32 s20, s19, 24
	s_mul_hi_u32 s21, s18, 24
	s_mul_i32 s22, s18, 24
	s_add_i32 s20, s21, s20
	v_mov_b32_e32 v0, s20
	s_waitcnt vmcnt(0)
	v_add_co_u32_e32 v10, vcc, s22, v6
	v_addc_co_u32_e32 v11, vcc, v7, v0, vcc
	s_and_saveexec_b64 s[20:21], s[4:5]
	s_cbranch_execz .LBB3_814
; %bb.813:                              ;   in Loop: Header=BB3_3 Depth=1
	v_pk_mov_b32 v[40:41], s[16:17], s[16:17] op_sel:[0,1]
	global_store_dwordx4 v[10:11], v[40:43], off offset:8
.LBB3_814:                              ;   in Loop: Header=BB3_3 Depth=1
	s_or_b64 exec, exec, s[20:21]
	s_lshl_b64 s[16:17], s[18:19], 12
	v_mov_b32_e32 v0, s17
	v_add_co_u32_e32 v8, vcc, s16, v8
	v_addc_co_u32_e32 v9, vcc, v9, v0, vcc
	v_and_or_b32 v2, v2, s71, 32
	v_mov_b32_e32 v4, v54
	v_mov_b32_e32 v5, v55
	v_readfirstlane_b32 s16, v8
	v_readfirstlane_b32 s17, v9
	s_mov_b32 s29, s28
	s_mov_b32 s30, s28
	;; [unrolled: 1-line block ×3, first 2 shown]
	s_nop 1
	global_store_dwordx4 v27, v[2:5], s[16:17]
	v_pk_mov_b32 v[0:1], s[28:29], s[28:29] op_sel:[0,1]
	v_pk_mov_b32 v[2:3], s[30:31], s[30:31] op_sel:[0,1]
	global_store_dwordx4 v27, v[0:3], s[16:17] offset:16
	global_store_dwordx4 v27, v[0:3], s[16:17] offset:32
	;; [unrolled: 1-line block ×3, first 2 shown]
	s_and_saveexec_b64 s[16:17], s[4:5]
	s_cbranch_execz .LBB3_822
; %bb.815:                              ;   in Loop: Header=BB3_3 Depth=1
	global_load_dwordx2 v[14:15], v51, s[12:13] offset:32 glc
	global_load_dwordx2 v[0:1], v51, s[12:13] offset:40
	v_mov_b32_e32 v12, s14
	v_mov_b32_e32 v13, s15
	s_waitcnt vmcnt(0)
	v_readfirstlane_b32 s18, v0
	v_readfirstlane_b32 s19, v1
	s_and_b64 s[18:19], s[18:19], s[14:15]
	s_mul_i32 s19, s19, 24
	s_mul_hi_u32 s20, s18, 24
	s_mul_i32 s18, s18, 24
	s_add_i32 s19, s20, s19
	v_mov_b32_e32 v0, s19
	v_add_co_u32_e32 v4, vcc, s18, v6
	v_addc_co_u32_e32 v5, vcc, v7, v0, vcc
	global_store_dwordx2 v[4:5], v[14:15], off
	buffer_wbl2
	s_waitcnt vmcnt(0)
	global_atomic_cmpswap_x2 v[2:3], v51, v[12:15], s[12:13] offset:32 glc
	s_waitcnt vmcnt(0)
	v_cmp_ne_u64_e32 vcc, v[2:3], v[14:15]
	s_and_saveexec_b64 s[18:19], vcc
	s_cbranch_execz .LBB3_818
; %bb.816:                              ;   in Loop: Header=BB3_3 Depth=1
	s_mov_b64 s[20:21], 0
.LBB3_817:                              ;   Parent Loop BB3_3 Depth=1
                                        ; =>  This Inner Loop Header: Depth=2
	s_sleep 1
	global_store_dwordx2 v[4:5], v[2:3], off
	v_mov_b32_e32 v0, s14
	v_mov_b32_e32 v1, s15
	buffer_wbl2
	s_waitcnt vmcnt(0)
	global_atomic_cmpswap_x2 v[0:1], v51, v[0:3], s[12:13] offset:32 glc
	s_waitcnt vmcnt(0)
	v_cmp_eq_u64_e32 vcc, v[0:1], v[2:3]
	s_or_b64 s[20:21], vcc, s[20:21]
	v_pk_mov_b32 v[2:3], v[0:1], v[0:1] op_sel:[0,1]
	s_andn2_b64 exec, exec, s[20:21]
	s_cbranch_execnz .LBB3_817
.LBB3_818:                              ;   in Loop: Header=BB3_3 Depth=1
	s_or_b64 exec, exec, s[18:19]
	global_load_dwordx2 v[0:1], v51, s[12:13] offset:16
	s_mov_b64 s[20:21], exec
	v_mbcnt_lo_u32_b32 v2, s20, 0
	v_mbcnt_hi_u32_b32 v2, s21, v2
	v_cmp_eq_u32_e32 vcc, 0, v2
	s_and_saveexec_b64 s[18:19], vcc
	s_cbranch_execz .LBB3_820
; %bb.819:                              ;   in Loop: Header=BB3_3 Depth=1
	s_bcnt1_i32_b64 s20, s[20:21]
	v_mov_b32_e32 v50, s20
	buffer_wbl2
	s_waitcnt vmcnt(0)
	global_atomic_add_x2 v[0:1], v[50:51], off offset:8
.LBB3_820:                              ;   in Loop: Header=BB3_3 Depth=1
	s_or_b64 exec, exec, s[18:19]
	s_waitcnt vmcnt(0)
	global_load_dwordx2 v[2:3], v[0:1], off offset:16
	s_waitcnt vmcnt(0)
	v_cmp_eq_u64_e32 vcc, 0, v[2:3]
	s_cbranch_vccnz .LBB3_822
; %bb.821:                              ;   in Loop: Header=BB3_3 Depth=1
	global_load_dword v50, v[0:1], off offset:24
	s_waitcnt vmcnt(0)
	v_and_b32_e32 v0, 0xffffff, v50
	v_readfirstlane_b32 m0, v0
	buffer_wbl2
	global_store_dwordx2 v[2:3], v[50:51], off
	s_sendmsg sendmsg(MSG_INTERRUPT)
.LBB3_822:                              ;   in Loop: Header=BB3_3 Depth=1
	s_or_b64 exec, exec, s[16:17]
	v_add_co_u32_e32 v0, vcc, v8, v27
	v_addc_co_u32_e32 v1, vcc, 0, v9, vcc
	s_branch .LBB3_826
.LBB3_823:                              ;   in Loop: Header=BB3_826 Depth=2
	s_or_b64 exec, exec, s[16:17]
	v_readfirstlane_b32 s16, v2
	s_cmp_eq_u32 s16, 0
	s_cbranch_scc1 .LBB3_825
; %bb.824:                              ;   in Loop: Header=BB3_826 Depth=2
	s_sleep 1
	s_cbranch_execnz .LBB3_826
	s_branch .LBB3_828
.LBB3_825:                              ;   in Loop: Header=BB3_3 Depth=1
	s_branch .LBB3_828
.LBB3_826:                              ;   Parent Loop BB3_3 Depth=1
                                        ; =>  This Inner Loop Header: Depth=2
	v_mov_b32_e32 v2, 1
	s_and_saveexec_b64 s[16:17], s[4:5]
	s_cbranch_execz .LBB3_823
; %bb.827:                              ;   in Loop: Header=BB3_826 Depth=2
	global_load_dword v2, v[10:11], off offset:20 glc
	s_waitcnt vmcnt(0)
	buffer_invl2
	buffer_wbinvl1_vol
	v_and_b32_e32 v2, 1, v2
	s_branch .LBB3_823
.LBB3_828:                              ;   in Loop: Header=BB3_3 Depth=1
	global_load_dwordx2 v[4:5], v[0:1], off
	s_and_saveexec_b64 s[16:17], s[4:5]
	s_cbranch_execz .LBB3_832
; %bb.829:                              ;   in Loop: Header=BB3_3 Depth=1
	global_load_dwordx2 v[6:7], v51, s[12:13] offset:40
	global_load_dwordx2 v[8:9], v51, s[12:13] offset:24 glc
	global_load_dwordx2 v[10:11], v51, s[12:13]
	v_mov_b32_e32 v1, s15
	s_waitcnt vmcnt(2)
	v_add_co_u32_e32 v3, vcc, 1, v6
	v_addc_co_u32_e32 v12, vcc, 0, v7, vcc
	v_add_co_u32_e32 v0, vcc, s14, v3
	v_addc_co_u32_e32 v1, vcc, v12, v1, vcc
	v_cmp_eq_u64_e32 vcc, 0, v[0:1]
	v_cndmask_b32_e32 v1, v1, v12, vcc
	v_cndmask_b32_e32 v0, v0, v3, vcc
	v_and_b32_e32 v3, v1, v7
	v_and_b32_e32 v6, v0, v6
	v_mul_lo_u32 v3, v3, 24
	v_mul_hi_u32 v7, v6, 24
	v_mul_lo_u32 v6, v6, 24
	v_add_u32_e32 v3, v7, v3
	s_waitcnt vmcnt(0)
	v_add_co_u32_e32 v6, vcc, v10, v6
	v_addc_co_u32_e32 v7, vcc, v11, v3, vcc
	v_mov_b32_e32 v2, v8
	global_store_dwordx2 v[6:7], v[8:9], off
	v_mov_b32_e32 v3, v9
	buffer_wbl2
	s_waitcnt vmcnt(0)
	global_atomic_cmpswap_x2 v[2:3], v51, v[0:3], s[12:13] offset:24 glc
	s_waitcnt vmcnt(0)
	v_cmp_ne_u64_e32 vcc, v[2:3], v[8:9]
	s_and_b64 exec, exec, vcc
	s_cbranch_execz .LBB3_832
; %bb.830:                              ;   in Loop: Header=BB3_3 Depth=1
	s_mov_b64 s[4:5], 0
.LBB3_831:                              ;   Parent Loop BB3_3 Depth=1
                                        ; =>  This Inner Loop Header: Depth=2
	s_sleep 1
	global_store_dwordx2 v[6:7], v[2:3], off
	buffer_wbl2
	s_waitcnt vmcnt(0)
	global_atomic_cmpswap_x2 v[8:9], v51, v[0:3], s[12:13] offset:24 glc
	s_waitcnt vmcnt(0)
	v_cmp_eq_u64_e32 vcc, v[8:9], v[2:3]
	s_or_b64 s[4:5], vcc, s[4:5]
	v_pk_mov_b32 v[2:3], v[8:9], v[8:9] op_sel:[0,1]
	s_andn2_b64 exec, exec, s[4:5]
	s_cbranch_execnz .LBB3_831
.LBB3_832:                              ;   in Loop: Header=BB3_3 Depth=1
	s_or_b64 exec, exec, s[16:17]
	v_readfirstlane_b32 s4, v57
	v_cmp_eq_u32_e64 s[4:5], s4, v57
	v_pk_mov_b32 v[6:7], 0, 0
	s_and_saveexec_b64 s[14:15], s[4:5]
	s_cbranch_execz .LBB3_838
; %bb.833:                              ;   in Loop: Header=BB3_3 Depth=1
	global_load_dwordx2 v[2:3], v51, s[12:13] offset:24 glc
	s_waitcnt vmcnt(0)
	buffer_invl2
	buffer_wbinvl1_vol
	global_load_dwordx2 v[0:1], v51, s[12:13] offset:40
	global_load_dwordx2 v[6:7], v51, s[12:13]
	s_waitcnt vmcnt(1)
	v_and_b32_e32 v0, v0, v2
	v_and_b32_e32 v1, v1, v3
	v_mul_lo_u32 v1, v1, 24
	v_mul_hi_u32 v8, v0, 24
	v_mul_lo_u32 v0, v0, 24
	v_add_u32_e32 v1, v8, v1
	s_waitcnt vmcnt(0)
	v_add_co_u32_e32 v0, vcc, v6, v0
	v_addc_co_u32_e32 v1, vcc, v7, v1, vcc
	global_load_dwordx2 v[0:1], v[0:1], off glc
	s_waitcnt vmcnt(0)
	global_atomic_cmpswap_x2 v[6:7], v51, v[0:3], s[12:13] offset:24 glc
	s_waitcnt vmcnt(0)
	buffer_invl2
	buffer_wbinvl1_vol
	v_cmp_ne_u64_e32 vcc, v[6:7], v[2:3]
	s_and_saveexec_b64 s[16:17], vcc
	s_cbranch_execz .LBB3_837
; %bb.834:                              ;   in Loop: Header=BB3_3 Depth=1
	s_mov_b64 s[18:19], 0
.LBB3_835:                              ;   Parent Loop BB3_3 Depth=1
                                        ; =>  This Inner Loop Header: Depth=2
	s_sleep 1
	global_load_dwordx2 v[0:1], v51, s[12:13] offset:40
	global_load_dwordx2 v[8:9], v51, s[12:13]
	v_pk_mov_b32 v[2:3], v[6:7], v[6:7] op_sel:[0,1]
	s_waitcnt vmcnt(1)
	v_and_b32_e32 v0, v0, v2
	v_and_b32_e32 v7, v1, v3
	s_waitcnt vmcnt(0)
	v_mad_u64_u32 v[0:1], s[20:21], v0, 24, v[8:9]
	v_mov_b32_e32 v6, v1
	v_mad_u64_u32 v[6:7], s[20:21], v7, 24, v[6:7]
	v_mov_b32_e32 v1, v6
	global_load_dwordx2 v[0:1], v[0:1], off glc
	s_waitcnt vmcnt(0)
	global_atomic_cmpswap_x2 v[6:7], v51, v[0:3], s[12:13] offset:24 glc
	s_waitcnt vmcnt(0)
	buffer_invl2
	buffer_wbinvl1_vol
	v_cmp_eq_u64_e32 vcc, v[6:7], v[2:3]
	s_or_b64 s[18:19], vcc, s[18:19]
	s_andn2_b64 exec, exec, s[18:19]
	s_cbranch_execnz .LBB3_835
; %bb.836:                              ;   in Loop: Header=BB3_3 Depth=1
	s_or_b64 exec, exec, s[18:19]
.LBB3_837:                              ;   in Loop: Header=BB3_3 Depth=1
	s_or_b64 exec, exec, s[16:17]
.LBB3_838:                              ;   in Loop: Header=BB3_3 Depth=1
	s_or_b64 exec, exec, s[14:15]
	global_load_dwordx2 v[8:9], v51, s[12:13] offset:40
	global_load_dwordx4 v[0:3], v51, s[12:13]
	v_readfirstlane_b32 s14, v6
	v_readfirstlane_b32 s15, v7
	s_mov_b64 s[16:17], exec
	s_waitcnt vmcnt(1)
	v_readfirstlane_b32 s18, v8
	v_readfirstlane_b32 s19, v9
	s_and_b64 s[18:19], s[14:15], s[18:19]
	s_mul_i32 s20, s19, 24
	s_mul_hi_u32 s21, s18, 24
	s_mul_i32 s22, s18, 24
	s_add_i32 s20, s21, s20
	v_mov_b32_e32 v6, s20
	s_waitcnt vmcnt(0)
	v_add_co_u32_e32 v8, vcc, s22, v0
	v_addc_co_u32_e32 v9, vcc, v1, v6, vcc
	s_and_saveexec_b64 s[20:21], s[4:5]
	s_cbranch_execz .LBB3_840
; %bb.839:                              ;   in Loop: Header=BB3_3 Depth=1
	v_pk_mov_b32 v[40:41], s[16:17], s[16:17] op_sel:[0,1]
	global_store_dwordx4 v[8:9], v[40:43], off offset:8
.LBB3_840:                              ;   in Loop: Header=BB3_3 Depth=1
	s_or_b64 exec, exec, s[20:21]
	s_lshl_b64 s[16:17], s[18:19], 12
	v_mov_b32_e32 v6, s17
	v_add_co_u32_e32 v10, vcc, s16, v2
	v_addc_co_u32_e32 v3, vcc, v3, v6, vcc
	v_mul_lo_u32 v2, v26, v26
	v_mad_u64_u32 v[6:7], s[16:17], v28, v28, v[2:3]
	v_and_or_b32 v4, v4, s71, 32
	v_mov_b32_e32 v7, v51
	v_readfirstlane_b32 s16, v10
	v_readfirstlane_b32 s17, v3
	s_mov_b32 s29, s28
	v_mov_b32_e32 v2, v6
	s_mov_b32 s30, s28
	s_mov_b32 s31, s28
	s_nop 0
	global_store_dwordx4 v27, v[4:7], s[16:17]
	s_nop 0
	v_pk_mov_b32 v[4:5], s[28:29], s[28:29] op_sel:[0,1]
	v_pk_mov_b32 v[6:7], s[30:31], s[30:31] op_sel:[0,1]
	global_store_dwordx4 v27, v[4:7], s[16:17] offset:16
	global_store_dwordx4 v27, v[4:7], s[16:17] offset:32
	;; [unrolled: 1-line block ×3, first 2 shown]
	s_and_saveexec_b64 s[16:17], s[4:5]
	s_cbranch_execz .LBB3_848
; %bb.841:                              ;   in Loop: Header=BB3_3 Depth=1
	global_load_dwordx2 v[14:15], v51, s[12:13] offset:32 glc
	global_load_dwordx2 v[4:5], v51, s[12:13] offset:40
	v_mov_b32_e32 v12, s14
	v_mov_b32_e32 v13, s15
	s_waitcnt vmcnt(0)
	v_readfirstlane_b32 s18, v4
	v_readfirstlane_b32 s19, v5
	s_and_b64 s[18:19], s[18:19], s[14:15]
	s_mul_i32 s19, s19, 24
	s_mul_hi_u32 s20, s18, 24
	s_mul_i32 s18, s18, 24
	s_add_i32 s19, s20, s19
	v_mov_b32_e32 v4, s19
	v_add_co_u32_e32 v0, vcc, s18, v0
	v_addc_co_u32_e32 v1, vcc, v1, v4, vcc
	global_store_dwordx2 v[0:1], v[14:15], off
	buffer_wbl2
	s_waitcnt vmcnt(0)
	global_atomic_cmpswap_x2 v[6:7], v51, v[12:15], s[12:13] offset:32 glc
	s_waitcnt vmcnt(0)
	v_cmp_ne_u64_e32 vcc, v[6:7], v[14:15]
	s_and_saveexec_b64 s[18:19], vcc
	s_cbranch_execz .LBB3_844
; %bb.842:                              ;   in Loop: Header=BB3_3 Depth=1
	s_mov_b64 s[20:21], 0
.LBB3_843:                              ;   Parent Loop BB3_3 Depth=1
                                        ; =>  This Inner Loop Header: Depth=2
	s_sleep 1
	global_store_dwordx2 v[0:1], v[6:7], off
	v_mov_b32_e32 v4, s14
	v_mov_b32_e32 v5, s15
	buffer_wbl2
	s_waitcnt vmcnt(0)
	global_atomic_cmpswap_x2 v[4:5], v51, v[4:7], s[12:13] offset:32 glc
	s_waitcnt vmcnt(0)
	v_cmp_eq_u64_e32 vcc, v[4:5], v[6:7]
	s_or_b64 s[20:21], vcc, s[20:21]
	v_pk_mov_b32 v[6:7], v[4:5], v[4:5] op_sel:[0,1]
	s_andn2_b64 exec, exec, s[20:21]
	s_cbranch_execnz .LBB3_843
.LBB3_844:                              ;   in Loop: Header=BB3_3 Depth=1
	s_or_b64 exec, exec, s[18:19]
	global_load_dwordx2 v[0:1], v51, s[12:13] offset:16
	s_mov_b64 s[20:21], exec
	v_mbcnt_lo_u32_b32 v4, s20, 0
	v_mbcnt_hi_u32_b32 v4, s21, v4
	v_cmp_eq_u32_e32 vcc, 0, v4
	s_and_saveexec_b64 s[18:19], vcc
	s_cbranch_execz .LBB3_846
; %bb.845:                              ;   in Loop: Header=BB3_3 Depth=1
	s_bcnt1_i32_b64 s20, s[20:21]
	v_mov_b32_e32 v4, s20
	v_mov_b32_e32 v5, v51
	buffer_wbl2
	s_waitcnt vmcnt(0)
	global_atomic_add_x2 v[0:1], v[4:5], off offset:8
.LBB3_846:                              ;   in Loop: Header=BB3_3 Depth=1
	s_or_b64 exec, exec, s[18:19]
	s_waitcnt vmcnt(0)
	global_load_dwordx2 v[4:5], v[0:1], off offset:16
	s_waitcnt vmcnt(0)
	v_cmp_eq_u64_e32 vcc, 0, v[4:5]
	s_cbranch_vccnz .LBB3_848
; %bb.847:                              ;   in Loop: Header=BB3_3 Depth=1
	global_load_dword v0, v[0:1], off offset:24
	v_mov_b32_e32 v1, v51
	buffer_wbl2
	s_waitcnt vmcnt(0)
	global_store_dwordx2 v[4:5], v[0:1], off
	v_and_b32_e32 v0, 0xffffff, v0
	v_readfirstlane_b32 m0, v0
	s_sendmsg sendmsg(MSG_INTERRUPT)
.LBB3_848:                              ;   in Loop: Header=BB3_3 Depth=1
	s_or_b64 exec, exec, s[16:17]
	v_add_co_u32_e32 v0, vcc, v10, v27
	v_addc_co_u32_e32 v1, vcc, 0, v3, vcc
	s_branch .LBB3_852
.LBB3_849:                              ;   in Loop: Header=BB3_852 Depth=2
	s_or_b64 exec, exec, s[16:17]
	v_readfirstlane_b32 s16, v3
	s_cmp_eq_u32 s16, 0
	s_cbranch_scc1 .LBB3_851
; %bb.850:                              ;   in Loop: Header=BB3_852 Depth=2
	s_sleep 1
	s_cbranch_execnz .LBB3_852
	s_branch .LBB3_854
.LBB3_851:                              ;   in Loop: Header=BB3_3 Depth=1
	s_branch .LBB3_854
.LBB3_852:                              ;   Parent Loop BB3_3 Depth=1
                                        ; =>  This Inner Loop Header: Depth=2
	v_mov_b32_e32 v3, 1
	s_and_saveexec_b64 s[16:17], s[4:5]
	s_cbranch_execz .LBB3_849
; %bb.853:                              ;   in Loop: Header=BB3_852 Depth=2
	global_load_dword v3, v[8:9], off offset:20 glc
	s_waitcnt vmcnt(0)
	buffer_invl2
	buffer_wbinvl1_vol
	v_and_b32_e32 v3, 1, v3
	s_branch .LBB3_849
.LBB3_854:                              ;   in Loop: Header=BB3_3 Depth=1
	global_load_dwordx2 v[0:1], v[0:1], off
	s_and_saveexec_b64 s[16:17], s[4:5]
	s_cbranch_execz .LBB3_858
; %bb.855:                              ;   in Loop: Header=BB3_3 Depth=1
	global_load_dwordx2 v[8:9], v51, s[12:13] offset:40
	global_load_dwordx2 v[10:11], v51, s[12:13] offset:24 glc
	global_load_dwordx2 v[12:13], v51, s[12:13]
	v_mov_b32_e32 v3, s15
	s_waitcnt vmcnt(2)
	v_add_co_u32_e32 v7, vcc, 1, v8
	v_addc_co_u32_e32 v14, vcc, 0, v9, vcc
	v_add_co_u32_e32 v4, vcc, s14, v7
	v_addc_co_u32_e32 v5, vcc, v14, v3, vcc
	v_cmp_eq_u64_e32 vcc, 0, v[4:5]
	v_cndmask_b32_e32 v5, v5, v14, vcc
	v_cndmask_b32_e32 v4, v4, v7, vcc
	v_and_b32_e32 v3, v5, v9
	v_and_b32_e32 v7, v4, v8
	v_mul_lo_u32 v3, v3, 24
	v_mul_hi_u32 v8, v7, 24
	v_mul_lo_u32 v7, v7, 24
	v_add_u32_e32 v3, v8, v3
	s_waitcnt vmcnt(0)
	v_add_co_u32_e32 v8, vcc, v12, v7
	v_addc_co_u32_e32 v9, vcc, v13, v3, vcc
	v_mov_b32_e32 v6, v10
	global_store_dwordx2 v[8:9], v[10:11], off
	v_mov_b32_e32 v7, v11
	buffer_wbl2
	s_waitcnt vmcnt(0)
	global_atomic_cmpswap_x2 v[6:7], v51, v[4:7], s[12:13] offset:24 glc
	s_waitcnt vmcnt(0)
	v_cmp_ne_u64_e32 vcc, v[6:7], v[10:11]
	s_and_b64 exec, exec, vcc
	s_cbranch_execz .LBB3_858
; %bb.856:                              ;   in Loop: Header=BB3_3 Depth=1
	s_mov_b64 s[4:5], 0
.LBB3_857:                              ;   Parent Loop BB3_3 Depth=1
                                        ; =>  This Inner Loop Header: Depth=2
	s_sleep 1
	global_store_dwordx2 v[8:9], v[6:7], off
	buffer_wbl2
	s_waitcnt vmcnt(0)
	global_atomic_cmpswap_x2 v[10:11], v51, v[4:7], s[12:13] offset:24 glc
	s_waitcnt vmcnt(0)
	v_cmp_eq_u64_e32 vcc, v[10:11], v[6:7]
	s_or_b64 s[4:5], vcc, s[4:5]
	v_pk_mov_b32 v[6:7], v[10:11], v[10:11] op_sel:[0,1]
	s_andn2_b64 exec, exec, s[4:5]
	s_cbranch_execnz .LBB3_857
.LBB3_858:                              ;   in Loop: Header=BB3_3 Depth=1
	s_or_b64 exec, exec, s[16:17]
	v_readfirstlane_b32 s4, v57
	v_cmp_eq_u32_e64 s[4:5], s4, v57
	v_pk_mov_b32 v[8:9], 0, 0
	s_and_saveexec_b64 s[14:15], s[4:5]
	s_cbranch_execz .LBB3_864
; %bb.859:                              ;   in Loop: Header=BB3_3 Depth=1
	global_load_dwordx2 v[6:7], v51, s[12:13] offset:24 glc
	s_waitcnt vmcnt(0)
	buffer_invl2
	buffer_wbinvl1_vol
	global_load_dwordx2 v[4:5], v51, s[12:13] offset:40
	global_load_dwordx2 v[8:9], v51, s[12:13]
	s_waitcnt vmcnt(1)
	v_and_b32_e32 v3, v4, v6
	v_and_b32_e32 v4, v5, v7
	v_mul_lo_u32 v4, v4, 24
	v_mul_hi_u32 v5, v3, 24
	v_mul_lo_u32 v3, v3, 24
	v_add_u32_e32 v5, v5, v4
	s_waitcnt vmcnt(0)
	v_add_co_u32_e32 v4, vcc, v8, v3
	v_addc_co_u32_e32 v5, vcc, v9, v5, vcc
	global_load_dwordx2 v[4:5], v[4:5], off glc
	s_waitcnt vmcnt(0)
	global_atomic_cmpswap_x2 v[8:9], v51, v[4:7], s[12:13] offset:24 glc
	s_waitcnt vmcnt(0)
	buffer_invl2
	buffer_wbinvl1_vol
	v_cmp_ne_u64_e32 vcc, v[8:9], v[6:7]
	s_and_saveexec_b64 s[16:17], vcc
	s_cbranch_execz .LBB3_863
; %bb.860:                              ;   in Loop: Header=BB3_3 Depth=1
	s_mov_b64 s[18:19], 0
.LBB3_861:                              ;   Parent Loop BB3_3 Depth=1
                                        ; =>  This Inner Loop Header: Depth=2
	s_sleep 1
	global_load_dwordx2 v[4:5], v51, s[12:13] offset:40
	global_load_dwordx2 v[10:11], v51, s[12:13]
	v_pk_mov_b32 v[6:7], v[8:9], v[8:9] op_sel:[0,1]
	s_waitcnt vmcnt(1)
	v_and_b32_e32 v4, v4, v6
	v_and_b32_e32 v3, v5, v7
	s_waitcnt vmcnt(0)
	v_mad_u64_u32 v[4:5], s[20:21], v4, 24, v[10:11]
	v_mov_b32_e32 v8, v5
	v_mad_u64_u32 v[8:9], s[20:21], v3, 24, v[8:9]
	v_mov_b32_e32 v5, v8
	global_load_dwordx2 v[4:5], v[4:5], off glc
	s_waitcnt vmcnt(0)
	global_atomic_cmpswap_x2 v[8:9], v51, v[4:7], s[12:13] offset:24 glc
	s_waitcnt vmcnt(0)
	buffer_invl2
	buffer_wbinvl1_vol
	v_cmp_eq_u64_e32 vcc, v[8:9], v[6:7]
	s_or_b64 s[18:19], vcc, s[18:19]
	s_andn2_b64 exec, exec, s[18:19]
	s_cbranch_execnz .LBB3_861
; %bb.862:                              ;   in Loop: Header=BB3_3 Depth=1
	s_or_b64 exec, exec, s[18:19]
.LBB3_863:                              ;   in Loop: Header=BB3_3 Depth=1
	s_or_b64 exec, exec, s[16:17]
.LBB3_864:                              ;   in Loop: Header=BB3_3 Depth=1
	s_or_b64 exec, exec, s[14:15]
	global_load_dwordx2 v[10:11], v51, s[12:13] offset:40
	global_load_dwordx4 v[4:7], v51, s[12:13]
	v_readfirstlane_b32 s14, v8
	v_readfirstlane_b32 s15, v9
	s_mov_b64 s[16:17], exec
	s_waitcnt vmcnt(1)
	v_readfirstlane_b32 s18, v10
	v_readfirstlane_b32 s19, v11
	s_and_b64 s[18:19], s[14:15], s[18:19]
	s_mul_i32 s20, s19, 24
	s_mul_hi_u32 s21, s18, 24
	s_mul_i32 s22, s18, 24
	s_add_i32 s20, s21, s20
	v_mov_b32_e32 v3, s20
	s_waitcnt vmcnt(0)
	v_add_co_u32_e32 v8, vcc, s22, v4
	v_addc_co_u32_e32 v9, vcc, v5, v3, vcc
	s_and_saveexec_b64 s[20:21], s[4:5]
	s_cbranch_execz .LBB3_866
; %bb.865:                              ;   in Loop: Header=BB3_3 Depth=1
	v_pk_mov_b32 v[40:41], s[16:17], s[16:17] op_sel:[0,1]
	global_store_dwordx4 v[8:9], v[40:43], off offset:8
.LBB3_866:                              ;   in Loop: Header=BB3_3 Depth=1
	s_or_b64 exec, exec, s[20:21]
	s_lshl_b64 s[16:17], s[18:19], 12
	v_mov_b32_e32 v3, s17
	v_add_co_u32_e32 v6, vcc, s16, v6
	v_addc_co_u32_e32 v7, vcc, v7, v3, vcc
	v_and_or_b32 v0, v0, s72, 34
	v_mov_b32_e32 v3, v51
	v_readfirstlane_b32 s16, v6
	v_readfirstlane_b32 s17, v7
	s_mov_b32 s29, s28
	s_mov_b32 s30, s28
	;; [unrolled: 1-line block ×3, first 2 shown]
	s_nop 1
	global_store_dwordx4 v27, v[0:3], s[16:17]
	s_nop 0
	v_pk_mov_b32 v[0:1], s[28:29], s[28:29] op_sel:[0,1]
	v_pk_mov_b32 v[2:3], s[30:31], s[30:31] op_sel:[0,1]
	global_store_dwordx4 v27, v[0:3], s[16:17] offset:16
	global_store_dwordx4 v27, v[0:3], s[16:17] offset:32
	;; [unrolled: 1-line block ×3, first 2 shown]
	s_and_saveexec_b64 s[16:17], s[4:5]
	s_cbranch_execz .LBB3_874
; %bb.867:                              ;   in Loop: Header=BB3_3 Depth=1
	global_load_dwordx2 v[12:13], v51, s[12:13] offset:32 glc
	global_load_dwordx2 v[0:1], v51, s[12:13] offset:40
	v_mov_b32_e32 v10, s14
	v_mov_b32_e32 v11, s15
	s_waitcnt vmcnt(0)
	v_readfirstlane_b32 s18, v0
	v_readfirstlane_b32 s19, v1
	s_and_b64 s[18:19], s[18:19], s[14:15]
	s_mul_i32 s19, s19, 24
	s_mul_hi_u32 s20, s18, 24
	s_mul_i32 s18, s18, 24
	s_add_i32 s19, s20, s19
	v_mov_b32_e32 v0, s19
	v_add_co_u32_e32 v4, vcc, s18, v4
	v_addc_co_u32_e32 v5, vcc, v5, v0, vcc
	global_store_dwordx2 v[4:5], v[12:13], off
	buffer_wbl2
	s_waitcnt vmcnt(0)
	global_atomic_cmpswap_x2 v[2:3], v51, v[10:13], s[12:13] offset:32 glc
	s_waitcnt vmcnt(0)
	v_cmp_ne_u64_e32 vcc, v[2:3], v[12:13]
	s_and_saveexec_b64 s[18:19], vcc
	s_cbranch_execz .LBB3_870
; %bb.868:                              ;   in Loop: Header=BB3_3 Depth=1
	s_mov_b64 s[20:21], 0
.LBB3_869:                              ;   Parent Loop BB3_3 Depth=1
                                        ; =>  This Inner Loop Header: Depth=2
	s_sleep 1
	global_store_dwordx2 v[4:5], v[2:3], off
	v_mov_b32_e32 v0, s14
	v_mov_b32_e32 v1, s15
	buffer_wbl2
	s_waitcnt vmcnt(0)
	global_atomic_cmpswap_x2 v[0:1], v51, v[0:3], s[12:13] offset:32 glc
	s_waitcnt vmcnt(0)
	v_cmp_eq_u64_e32 vcc, v[0:1], v[2:3]
	s_or_b64 s[20:21], vcc, s[20:21]
	v_pk_mov_b32 v[2:3], v[0:1], v[0:1] op_sel:[0,1]
	s_andn2_b64 exec, exec, s[20:21]
	s_cbranch_execnz .LBB3_869
.LBB3_870:                              ;   in Loop: Header=BB3_3 Depth=1
	s_or_b64 exec, exec, s[18:19]
	global_load_dwordx2 v[0:1], v51, s[12:13] offset:16
	s_mov_b64 s[20:21], exec
	v_mbcnt_lo_u32_b32 v2, s20, 0
	v_mbcnt_hi_u32_b32 v2, s21, v2
	v_cmp_eq_u32_e32 vcc, 0, v2
	s_and_saveexec_b64 s[18:19], vcc
	s_cbranch_execz .LBB3_872
; %bb.871:                              ;   in Loop: Header=BB3_3 Depth=1
	s_bcnt1_i32_b64 s20, s[20:21]
	v_mov_b32_e32 v50, s20
	buffer_wbl2
	s_waitcnt vmcnt(0)
	global_atomic_add_x2 v[0:1], v[50:51], off offset:8
.LBB3_872:                              ;   in Loop: Header=BB3_3 Depth=1
	s_or_b64 exec, exec, s[18:19]
	s_waitcnt vmcnt(0)
	global_load_dwordx2 v[2:3], v[0:1], off offset:16
	s_waitcnt vmcnt(0)
	v_cmp_eq_u64_e32 vcc, 0, v[2:3]
	s_cbranch_vccnz .LBB3_874
; %bb.873:                              ;   in Loop: Header=BB3_3 Depth=1
	global_load_dword v50, v[0:1], off offset:24
	s_waitcnt vmcnt(0)
	v_and_b32_e32 v0, 0xffffff, v50
	v_readfirstlane_b32 m0, v0
	buffer_wbl2
	global_store_dwordx2 v[2:3], v[50:51], off
	s_sendmsg sendmsg(MSG_INTERRUPT)
.LBB3_874:                              ;   in Loop: Header=BB3_3 Depth=1
	s_or_b64 exec, exec, s[16:17]
	v_add_co_u32_e32 v0, vcc, v6, v27
	v_addc_co_u32_e32 v1, vcc, 0, v7, vcc
	s_branch .LBB3_878
.LBB3_875:                              ;   in Loop: Header=BB3_878 Depth=2
	s_or_b64 exec, exec, s[16:17]
	v_readfirstlane_b32 s16, v2
	s_cmp_eq_u32 s16, 0
	s_cbranch_scc1 .LBB3_877
; %bb.876:                              ;   in Loop: Header=BB3_878 Depth=2
	s_sleep 1
	s_cbranch_execnz .LBB3_878
	s_branch .LBB3_880
.LBB3_877:                              ;   in Loop: Header=BB3_3 Depth=1
	s_branch .LBB3_880
.LBB3_878:                              ;   Parent Loop BB3_3 Depth=1
                                        ; =>  This Inner Loop Header: Depth=2
	v_mov_b32_e32 v2, 1
	s_and_saveexec_b64 s[16:17], s[4:5]
	s_cbranch_execz .LBB3_875
; %bb.879:                              ;   in Loop: Header=BB3_878 Depth=2
	global_load_dword v2, v[8:9], off offset:20 glc
	s_waitcnt vmcnt(0)
	buffer_invl2
	buffer_wbinvl1_vol
	v_and_b32_e32 v2, 1, v2
	s_branch .LBB3_875
.LBB3_880:                              ;   in Loop: Header=BB3_3 Depth=1
	global_load_dwordx2 v[0:1], v[0:1], off
	s_and_saveexec_b64 s[16:17], s[4:5]
	s_cbranch_execz .LBB3_884
; %bb.881:                              ;   in Loop: Header=BB3_3 Depth=1
	global_load_dwordx2 v[6:7], v51, s[12:13] offset:40
	global_load_dwordx2 v[8:9], v51, s[12:13] offset:24 glc
	global_load_dwordx2 v[10:11], v51, s[12:13]
	s_waitcnt vmcnt(3)
	v_mov_b32_e32 v1, s15
	s_waitcnt vmcnt(2)
	v_add_co_u32_e32 v5, vcc, 1, v6
	v_addc_co_u32_e32 v12, vcc, 0, v7, vcc
	v_add_co_u32_e32 v2, vcc, s14, v5
	v_addc_co_u32_e32 v3, vcc, v12, v1, vcc
	v_cmp_eq_u64_e32 vcc, 0, v[2:3]
	v_cndmask_b32_e32 v3, v3, v12, vcc
	v_cndmask_b32_e32 v2, v2, v5, vcc
	v_and_b32_e32 v1, v3, v7
	v_and_b32_e32 v5, v2, v6
	v_mul_lo_u32 v1, v1, 24
	v_mul_hi_u32 v6, v5, 24
	v_mul_lo_u32 v5, v5, 24
	v_add_u32_e32 v1, v6, v1
	s_waitcnt vmcnt(0)
	v_add_co_u32_e32 v6, vcc, v10, v5
	v_addc_co_u32_e32 v7, vcc, v11, v1, vcc
	v_mov_b32_e32 v4, v8
	global_store_dwordx2 v[6:7], v[8:9], off
	v_mov_b32_e32 v5, v9
	buffer_wbl2
	s_waitcnt vmcnt(0)
	global_atomic_cmpswap_x2 v[4:5], v51, v[2:5], s[12:13] offset:24 glc
	s_waitcnt vmcnt(0)
	v_cmp_ne_u64_e32 vcc, v[4:5], v[8:9]
	s_and_b64 exec, exec, vcc
	s_cbranch_execz .LBB3_884
; %bb.882:                              ;   in Loop: Header=BB3_3 Depth=1
	s_mov_b64 s[4:5], 0
.LBB3_883:                              ;   Parent Loop BB3_3 Depth=1
                                        ; =>  This Inner Loop Header: Depth=2
	s_sleep 1
	global_store_dwordx2 v[6:7], v[4:5], off
	buffer_wbl2
	s_waitcnt vmcnt(0)
	global_atomic_cmpswap_x2 v[8:9], v51, v[2:5], s[12:13] offset:24 glc
	s_waitcnt vmcnt(0)
	v_cmp_eq_u64_e32 vcc, v[8:9], v[4:5]
	s_or_b64 s[4:5], vcc, s[4:5]
	v_pk_mov_b32 v[4:5], v[8:9], v[8:9] op_sel:[0,1]
	s_andn2_b64 exec, exec, s[4:5]
	s_cbranch_execnz .LBB3_883
.LBB3_884:                              ;   in Loop: Header=BB3_3 Depth=1
	s_or_b64 exec, exec, s[16:17]
                                        ; implicit-def: $vgpr26
.LBB3_885:                              ;   in Loop: Header=BB3_3 Depth=1
	s_andn2_saveexec_b64 s[10:11], s[10:11]
	s_cbranch_execz .LBB3_908
; %bb.886:                              ;   in Loop: Header=BB3_3 Depth=1
	flat_load_dword v28, v[46:47]
	s_load_dwordx2 s[12:13], s[26:27], 0x50
	v_readfirstlane_b32 s4, v57
	v_cmp_eq_u32_e64 s[4:5], s4, v57
	v_pk_mov_b32 v[4:5], 0, 0
	s_and_saveexec_b64 s[14:15], s[4:5]
	s_cbranch_execz .LBB3_892
; %bb.887:                              ;   in Loop: Header=BB3_3 Depth=1
	s_waitcnt lgkmcnt(0)
	global_load_dwordx2 v[2:3], v51, s[12:13] offset:24 glc
	s_waitcnt vmcnt(0)
	buffer_invl2
	buffer_wbinvl1_vol
	global_load_dwordx2 v[0:1], v51, s[12:13] offset:40
	global_load_dwordx2 v[4:5], v51, s[12:13]
	s_waitcnt vmcnt(1)
	v_and_b32_e32 v0, v0, v2
	v_and_b32_e32 v1, v1, v3
	v_mul_lo_u32 v1, v1, 24
	v_mul_hi_u32 v6, v0, 24
	v_mul_lo_u32 v0, v0, 24
	v_add_u32_e32 v1, v6, v1
	s_waitcnt vmcnt(0)
	v_add_co_u32_e32 v0, vcc, v4, v0
	v_addc_co_u32_e32 v1, vcc, v5, v1, vcc
	global_load_dwordx2 v[0:1], v[0:1], off glc
	s_waitcnt vmcnt(0)
	global_atomic_cmpswap_x2 v[4:5], v51, v[0:3], s[12:13] offset:24 glc
	s_waitcnt vmcnt(0)
	buffer_invl2
	buffer_wbinvl1_vol
	v_cmp_ne_u64_e32 vcc, v[4:5], v[2:3]
	s_and_saveexec_b64 s[16:17], vcc
	s_cbranch_execz .LBB3_891
; %bb.888:                              ;   in Loop: Header=BB3_3 Depth=1
	s_mov_b64 s[18:19], 0
.LBB3_889:                              ;   Parent Loop BB3_3 Depth=1
                                        ; =>  This Inner Loop Header: Depth=2
	s_sleep 1
	global_load_dwordx2 v[0:1], v51, s[12:13] offset:40
	global_load_dwordx2 v[6:7], v51, s[12:13]
	v_pk_mov_b32 v[2:3], v[4:5], v[4:5] op_sel:[0,1]
	s_waitcnt vmcnt(1)
	v_and_b32_e32 v0, v0, v2
	v_and_b32_e32 v5, v1, v3
	s_waitcnt vmcnt(0)
	v_mad_u64_u32 v[0:1], s[20:21], v0, 24, v[6:7]
	v_mov_b32_e32 v4, v1
	v_mad_u64_u32 v[4:5], s[20:21], v5, 24, v[4:5]
	v_mov_b32_e32 v1, v4
	global_load_dwordx2 v[0:1], v[0:1], off glc
	s_waitcnt vmcnt(0)
	global_atomic_cmpswap_x2 v[4:5], v51, v[0:3], s[12:13] offset:24 glc
	s_waitcnt vmcnt(0)
	buffer_invl2
	buffer_wbinvl1_vol
	v_cmp_eq_u64_e32 vcc, v[4:5], v[2:3]
	s_or_b64 s[18:19], vcc, s[18:19]
	s_andn2_b64 exec, exec, s[18:19]
	s_cbranch_execnz .LBB3_889
; %bb.890:                              ;   in Loop: Header=BB3_3 Depth=1
	s_or_b64 exec, exec, s[18:19]
.LBB3_891:                              ;   in Loop: Header=BB3_3 Depth=1
	s_or_b64 exec, exec, s[16:17]
.LBB3_892:                              ;   in Loop: Header=BB3_3 Depth=1
	s_or_b64 exec, exec, s[14:15]
	s_waitcnt lgkmcnt(0)
	global_load_dwordx2 v[6:7], v51, s[12:13] offset:40
	global_load_dwordx4 v[0:3], v51, s[12:13]
	v_readfirstlane_b32 s14, v4
	v_readfirstlane_b32 s15, v5
	s_mov_b64 s[16:17], exec
	s_waitcnt vmcnt(0)
	v_readfirstlane_b32 s18, v6
	v_readfirstlane_b32 s19, v7
	s_and_b64 s[18:19], s[14:15], s[18:19]
	s_mul_i32 s20, s19, 24
	s_mul_hi_u32 s21, s18, 24
	s_mul_i32 s22, s18, 24
	s_add_i32 s20, s21, s20
	v_mov_b32_e32 v5, s20
	v_add_co_u32_e32 v4, vcc, s22, v0
	v_addc_co_u32_e32 v5, vcc, v1, v5, vcc
	s_and_saveexec_b64 s[20:21], s[4:5]
	s_cbranch_execz .LBB3_894
; %bb.893:                              ;   in Loop: Header=BB3_3 Depth=1
	v_pk_mov_b32 v[40:41], s[16:17], s[16:17] op_sel:[0,1]
	global_store_dwordx4 v[4:5], v[40:43], off offset:8
.LBB3_894:                              ;   in Loop: Header=BB3_3 Depth=1
	s_or_b64 exec, exec, s[20:21]
	s_lshl_b64 s[16:17], s[18:19], 12
	v_mov_b32_e32 v7, s17
	v_add_co_u32_e32 v6, vcc, s16, v2
	s_mov_b32 s29, s28
	v_addc_co_u32_e32 v7, vcc, v3, v7, vcc
	s_mov_b32 s30, s28
	s_mov_b32 s31, s28
	v_pk_mov_b32 v[8:9], s[28:29], s[28:29] op_sel:[0,1]
	v_lshlrev_b32_e32 v27, 6, v57
	v_mov_b32_e32 v49, v51
	v_mov_b32_e32 v50, v51
	v_readfirstlane_b32 s16, v6
	v_readfirstlane_b32 s17, v7
	v_pk_mov_b32 v[10:11], s[30:31], s[30:31] op_sel:[0,1]
	s_nop 3
	global_store_dwordx4 v27, v[48:51], s[16:17]
	global_store_dwordx4 v27, v[8:11], s[16:17] offset:16
	global_store_dwordx4 v27, v[8:11], s[16:17] offset:32
	;; [unrolled: 1-line block ×3, first 2 shown]
	s_and_saveexec_b64 s[16:17], s[4:5]
	s_cbranch_execz .LBB3_902
; %bb.895:                              ;   in Loop: Header=BB3_3 Depth=1
	global_load_dwordx2 v[12:13], v51, s[12:13] offset:32 glc
	global_load_dwordx2 v[2:3], v51, s[12:13] offset:40
	v_mov_b32_e32 v10, s14
	v_mov_b32_e32 v11, s15
	s_waitcnt vmcnt(0)
	v_and_b32_e32 v2, s14, v2
	v_and_b32_e32 v3, s15, v3
	v_mul_lo_u32 v3, v3, 24
	v_mul_hi_u32 v8, v2, 24
	v_mul_lo_u32 v2, v2, 24
	v_add_u32_e32 v3, v8, v3
	v_add_co_u32_e32 v8, vcc, v0, v2
	v_addc_co_u32_e32 v9, vcc, v1, v3, vcc
	global_store_dwordx2 v[8:9], v[12:13], off
	buffer_wbl2
	s_waitcnt vmcnt(0)
	global_atomic_cmpswap_x2 v[2:3], v51, v[10:13], s[12:13] offset:32 glc
	s_waitcnt vmcnt(0)
	v_cmp_ne_u64_e32 vcc, v[2:3], v[12:13]
	s_and_saveexec_b64 s[18:19], vcc
	s_cbranch_execz .LBB3_898
; %bb.896:                              ;   in Loop: Header=BB3_3 Depth=1
	s_mov_b64 s[20:21], 0
.LBB3_897:                              ;   Parent Loop BB3_3 Depth=1
                                        ; =>  This Inner Loop Header: Depth=2
	s_sleep 1
	global_store_dwordx2 v[8:9], v[2:3], off
	v_mov_b32_e32 v0, s14
	v_mov_b32_e32 v1, s15
	buffer_wbl2
	s_waitcnt vmcnt(0)
	global_atomic_cmpswap_x2 v[0:1], v51, v[0:3], s[12:13] offset:32 glc
	s_waitcnt vmcnt(0)
	v_cmp_eq_u64_e32 vcc, v[0:1], v[2:3]
	s_or_b64 s[20:21], vcc, s[20:21]
	v_pk_mov_b32 v[2:3], v[0:1], v[0:1] op_sel:[0,1]
	s_andn2_b64 exec, exec, s[20:21]
	s_cbranch_execnz .LBB3_897
.LBB3_898:                              ;   in Loop: Header=BB3_3 Depth=1
	s_or_b64 exec, exec, s[18:19]
	global_load_dwordx2 v[0:1], v51, s[12:13] offset:16
	s_mov_b64 s[20:21], exec
	v_mbcnt_lo_u32_b32 v2, s20, 0
	v_mbcnt_hi_u32_b32 v2, s21, v2
	v_cmp_eq_u32_e32 vcc, 0, v2
	s_and_saveexec_b64 s[18:19], vcc
	s_cbranch_execz .LBB3_900
; %bb.899:                              ;   in Loop: Header=BB3_3 Depth=1
	s_bcnt1_i32_b64 s20, s[20:21]
	v_mov_b32_e32 v50, s20
	buffer_wbl2
	s_waitcnt vmcnt(0)
	global_atomic_add_x2 v[0:1], v[50:51], off offset:8
.LBB3_900:                              ;   in Loop: Header=BB3_3 Depth=1
	s_or_b64 exec, exec, s[18:19]
	s_waitcnt vmcnt(0)
	global_load_dwordx2 v[2:3], v[0:1], off offset:16
	s_waitcnt vmcnt(0)
	v_cmp_eq_u64_e32 vcc, 0, v[2:3]
	s_cbranch_vccnz .LBB3_902
; %bb.901:                              ;   in Loop: Header=BB3_3 Depth=1
	global_load_dword v50, v[0:1], off offset:24
	s_waitcnt vmcnt(0)
	v_and_b32_e32 v0, 0xffffff, v50
	v_readfirstlane_b32 m0, v0
	buffer_wbl2
	global_store_dwordx2 v[2:3], v[50:51], off
	s_sendmsg sendmsg(MSG_INTERRUPT)
.LBB3_902:                              ;   in Loop: Header=BB3_3 Depth=1
	s_or_b64 exec, exec, s[16:17]
	v_add_co_u32_e32 v0, vcc, v6, v27
	v_addc_co_u32_e32 v1, vcc, 0, v7, vcc
	s_branch .LBB3_906
.LBB3_903:                              ;   in Loop: Header=BB3_906 Depth=2
	s_or_b64 exec, exec, s[16:17]
	v_readfirstlane_b32 s16, v2
	s_cmp_eq_u32 s16, 0
	s_cbranch_scc1 .LBB3_905
; %bb.904:                              ;   in Loop: Header=BB3_906 Depth=2
	s_sleep 1
	s_cbranch_execnz .LBB3_906
	s_branch .LBB3_933
.LBB3_905:                              ;   in Loop: Header=BB3_3 Depth=1
	s_branch .LBB3_933
.LBB3_906:                              ;   Parent Loop BB3_3 Depth=1
                                        ; =>  This Inner Loop Header: Depth=2
	v_mov_b32_e32 v2, 1
	s_and_saveexec_b64 s[16:17], s[4:5]
	s_cbranch_execz .LBB3_903
; %bb.907:                              ;   in Loop: Header=BB3_906 Depth=2
	global_load_dword v2, v[4:5], off offset:20 glc
	s_waitcnt vmcnt(0)
	buffer_invl2
	buffer_wbinvl1_vol
	v_and_b32_e32 v2, 1, v2
	s_branch .LBB3_903
.LBB3_908:                              ;   in Loop: Header=BB3_3 Depth=1
	s_or_b64 exec, exec, s[10:11]
                                        ; implicit-def: $vgpr26
.LBB3_909:                              ;   in Loop: Header=BB3_3 Depth=1
	s_andn2_saveexec_b64 s[8:9], s[8:9]
	s_cbranch_execz .LBB3_1545
.LBB3_910:                              ;   in Loop: Header=BB3_3 Depth=1
	v_cmp_ne_u32_e32 vcc, 1, v56
                                        ; implicit-def: $vgpr0_vgpr1
	s_and_saveexec_b64 s[4:5], vcc
	s_xor_b64 s[10:11], exec, s[4:5]
	s_cbranch_execz .LBB3_1325
; %bb.911:                              ;   in Loop: Header=BB3_3 Depth=1
	flat_load_dword v28, v[46:47]
	s_load_dwordx2 s[12:13], s[26:27], 0x50
	v_readfirstlane_b32 s4, v57
	v_cmp_eq_u32_e64 s[4:5], s4, v57
	v_pk_mov_b32 v[4:5], 0, 0
	s_and_saveexec_b64 s[14:15], s[4:5]
	s_cbranch_execz .LBB3_917
; %bb.912:                              ;   in Loop: Header=BB3_3 Depth=1
	s_waitcnt lgkmcnt(0)
	global_load_dwordx2 v[2:3], v51, s[12:13] offset:24 glc
	s_waitcnt vmcnt(0)
	buffer_invl2
	buffer_wbinvl1_vol
	global_load_dwordx2 v[0:1], v51, s[12:13] offset:40
	global_load_dwordx2 v[4:5], v51, s[12:13]
	s_waitcnt vmcnt(1)
	v_and_b32_e32 v0, v0, v2
	v_and_b32_e32 v1, v1, v3
	v_mul_lo_u32 v1, v1, 24
	v_mul_hi_u32 v6, v0, 24
	v_mul_lo_u32 v0, v0, 24
	v_add_u32_e32 v1, v6, v1
	s_waitcnt vmcnt(0)
	v_add_co_u32_e32 v0, vcc, v4, v0
	v_addc_co_u32_e32 v1, vcc, v5, v1, vcc
	global_load_dwordx2 v[0:1], v[0:1], off glc
	s_waitcnt vmcnt(0)
	global_atomic_cmpswap_x2 v[4:5], v51, v[0:3], s[12:13] offset:24 glc
	s_waitcnt vmcnt(0)
	buffer_invl2
	buffer_wbinvl1_vol
	v_cmp_ne_u64_e32 vcc, v[4:5], v[2:3]
	s_and_saveexec_b64 s[16:17], vcc
	s_cbranch_execz .LBB3_916
; %bb.913:                              ;   in Loop: Header=BB3_3 Depth=1
	s_mov_b64 s[18:19], 0
.LBB3_914:                              ;   Parent Loop BB3_3 Depth=1
                                        ; =>  This Inner Loop Header: Depth=2
	s_sleep 1
	global_load_dwordx2 v[0:1], v51, s[12:13] offset:40
	global_load_dwordx2 v[6:7], v51, s[12:13]
	v_pk_mov_b32 v[2:3], v[4:5], v[4:5] op_sel:[0,1]
	s_waitcnt vmcnt(1)
	v_and_b32_e32 v0, v0, v2
	v_and_b32_e32 v5, v1, v3
	s_waitcnt vmcnt(0)
	v_mad_u64_u32 v[0:1], s[20:21], v0, 24, v[6:7]
	v_mov_b32_e32 v4, v1
	v_mad_u64_u32 v[4:5], s[20:21], v5, 24, v[4:5]
	v_mov_b32_e32 v1, v4
	global_load_dwordx2 v[0:1], v[0:1], off glc
	s_waitcnt vmcnt(0)
	global_atomic_cmpswap_x2 v[4:5], v51, v[0:3], s[12:13] offset:24 glc
	s_waitcnt vmcnt(0)
	buffer_invl2
	buffer_wbinvl1_vol
	v_cmp_eq_u64_e32 vcc, v[4:5], v[2:3]
	s_or_b64 s[18:19], vcc, s[18:19]
	s_andn2_b64 exec, exec, s[18:19]
	s_cbranch_execnz .LBB3_914
; %bb.915:                              ;   in Loop: Header=BB3_3 Depth=1
	s_or_b64 exec, exec, s[18:19]
.LBB3_916:                              ;   in Loop: Header=BB3_3 Depth=1
	s_or_b64 exec, exec, s[16:17]
.LBB3_917:                              ;   in Loop: Header=BB3_3 Depth=1
	s_or_b64 exec, exec, s[14:15]
	s_waitcnt lgkmcnt(0)
	global_load_dwordx2 v[6:7], v51, s[12:13] offset:40
	global_load_dwordx4 v[0:3], v51, s[12:13]
	v_readfirstlane_b32 s14, v4
	v_readfirstlane_b32 s15, v5
	s_mov_b64 s[16:17], exec
	s_waitcnt vmcnt(0)
	v_readfirstlane_b32 s18, v6
	v_readfirstlane_b32 s19, v7
	s_and_b64 s[18:19], s[14:15], s[18:19]
	s_mul_i32 s20, s19, 24
	s_mul_hi_u32 s21, s18, 24
	s_mul_i32 s22, s18, 24
	s_add_i32 s20, s21, s20
	v_mov_b32_e32 v5, s20
	v_add_co_u32_e32 v4, vcc, s22, v0
	v_addc_co_u32_e32 v5, vcc, v1, v5, vcc
	s_and_saveexec_b64 s[20:21], s[4:5]
	s_cbranch_execz .LBB3_919
; %bb.918:                              ;   in Loop: Header=BB3_3 Depth=1
	v_pk_mov_b32 v[40:41], s[16:17], s[16:17] op_sel:[0,1]
	global_store_dwordx4 v[4:5], v[40:43], off offset:8
.LBB3_919:                              ;   in Loop: Header=BB3_3 Depth=1
	s_or_b64 exec, exec, s[20:21]
	s_lshl_b64 s[16:17], s[18:19], 12
	v_mov_b32_e32 v7, s17
	v_add_co_u32_e32 v6, vcc, s16, v2
	s_mov_b32 s29, s28
	v_addc_co_u32_e32 v7, vcc, v3, v7, vcc
	s_mov_b32 s30, s28
	s_mov_b32 s31, s28
	v_pk_mov_b32 v[8:9], s[28:29], s[28:29] op_sel:[0,1]
	v_lshlrev_b32_e32 v27, 6, v57
	v_mov_b32_e32 v49, v51
	v_mov_b32_e32 v50, v51
	v_readfirstlane_b32 s16, v6
	v_readfirstlane_b32 s17, v7
	v_pk_mov_b32 v[10:11], s[30:31], s[30:31] op_sel:[0,1]
	s_nop 3
	global_store_dwordx4 v27, v[48:51], s[16:17]
	global_store_dwordx4 v27, v[8:11], s[16:17] offset:16
	global_store_dwordx4 v27, v[8:11], s[16:17] offset:32
	;; [unrolled: 1-line block ×3, first 2 shown]
	s_and_saveexec_b64 s[16:17], s[4:5]
	s_cbranch_execz .LBB3_927
; %bb.920:                              ;   in Loop: Header=BB3_3 Depth=1
	global_load_dwordx2 v[12:13], v51, s[12:13] offset:32 glc
	global_load_dwordx2 v[2:3], v51, s[12:13] offset:40
	v_mov_b32_e32 v10, s14
	v_mov_b32_e32 v11, s15
	s_waitcnt vmcnt(0)
	v_and_b32_e32 v2, s14, v2
	v_and_b32_e32 v3, s15, v3
	v_mul_lo_u32 v3, v3, 24
	v_mul_hi_u32 v8, v2, 24
	v_mul_lo_u32 v2, v2, 24
	v_add_u32_e32 v3, v8, v3
	v_add_co_u32_e32 v8, vcc, v0, v2
	v_addc_co_u32_e32 v9, vcc, v1, v3, vcc
	global_store_dwordx2 v[8:9], v[12:13], off
	buffer_wbl2
	s_waitcnt vmcnt(0)
	global_atomic_cmpswap_x2 v[2:3], v51, v[10:13], s[12:13] offset:32 glc
	s_waitcnt vmcnt(0)
	v_cmp_ne_u64_e32 vcc, v[2:3], v[12:13]
	s_and_saveexec_b64 s[18:19], vcc
	s_cbranch_execz .LBB3_923
; %bb.921:                              ;   in Loop: Header=BB3_3 Depth=1
	s_mov_b64 s[20:21], 0
.LBB3_922:                              ;   Parent Loop BB3_3 Depth=1
                                        ; =>  This Inner Loop Header: Depth=2
	s_sleep 1
	global_store_dwordx2 v[8:9], v[2:3], off
	v_mov_b32_e32 v0, s14
	v_mov_b32_e32 v1, s15
	buffer_wbl2
	s_waitcnt vmcnt(0)
	global_atomic_cmpswap_x2 v[0:1], v51, v[0:3], s[12:13] offset:32 glc
	s_waitcnt vmcnt(0)
	v_cmp_eq_u64_e32 vcc, v[0:1], v[2:3]
	s_or_b64 s[20:21], vcc, s[20:21]
	v_pk_mov_b32 v[2:3], v[0:1], v[0:1] op_sel:[0,1]
	s_andn2_b64 exec, exec, s[20:21]
	s_cbranch_execnz .LBB3_922
.LBB3_923:                              ;   in Loop: Header=BB3_3 Depth=1
	s_or_b64 exec, exec, s[18:19]
	global_load_dwordx2 v[0:1], v51, s[12:13] offset:16
	s_mov_b64 s[20:21], exec
	v_mbcnt_lo_u32_b32 v2, s20, 0
	v_mbcnt_hi_u32_b32 v2, s21, v2
	v_cmp_eq_u32_e32 vcc, 0, v2
	s_and_saveexec_b64 s[18:19], vcc
	s_cbranch_execz .LBB3_925
; %bb.924:                              ;   in Loop: Header=BB3_3 Depth=1
	s_bcnt1_i32_b64 s20, s[20:21]
	v_mov_b32_e32 v50, s20
	buffer_wbl2
	s_waitcnt vmcnt(0)
	global_atomic_add_x2 v[0:1], v[50:51], off offset:8
.LBB3_925:                              ;   in Loop: Header=BB3_3 Depth=1
	s_or_b64 exec, exec, s[18:19]
	s_waitcnt vmcnt(0)
	global_load_dwordx2 v[2:3], v[0:1], off offset:16
	s_waitcnt vmcnt(0)
	v_cmp_eq_u64_e32 vcc, 0, v[2:3]
	s_cbranch_vccnz .LBB3_927
; %bb.926:                              ;   in Loop: Header=BB3_3 Depth=1
	global_load_dword v50, v[0:1], off offset:24
	s_waitcnt vmcnt(0)
	v_and_b32_e32 v0, 0xffffff, v50
	v_readfirstlane_b32 m0, v0
	buffer_wbl2
	global_store_dwordx2 v[2:3], v[50:51], off
	s_sendmsg sendmsg(MSG_INTERRUPT)
.LBB3_927:                              ;   in Loop: Header=BB3_3 Depth=1
	s_or_b64 exec, exec, s[16:17]
	v_add_co_u32_e32 v0, vcc, v6, v27
	v_addc_co_u32_e32 v1, vcc, 0, v7, vcc
	s_branch .LBB3_931
.LBB3_928:                              ;   in Loop: Header=BB3_931 Depth=2
	s_or_b64 exec, exec, s[16:17]
	v_readfirstlane_b32 s16, v2
	s_cmp_eq_u32 s16, 0
	s_cbranch_scc1 .LBB3_930
; %bb.929:                              ;   in Loop: Header=BB3_931 Depth=2
	s_sleep 1
	s_cbranch_execnz .LBB3_931
	s_branch .LBB3_1021
.LBB3_930:                              ;   in Loop: Header=BB3_3 Depth=1
	s_branch .LBB3_1021
.LBB3_931:                              ;   Parent Loop BB3_3 Depth=1
                                        ; =>  This Inner Loop Header: Depth=2
	v_mov_b32_e32 v2, 1
	s_and_saveexec_b64 s[16:17], s[4:5]
	s_cbranch_execz .LBB3_928
; %bb.932:                              ;   in Loop: Header=BB3_931 Depth=2
	global_load_dword v2, v[4:5], off offset:20 glc
	s_waitcnt vmcnt(0)
	buffer_invl2
	buffer_wbinvl1_vol
	v_and_b32_e32 v2, 1, v2
	s_branch .LBB3_928
.LBB3_933:                              ;   in Loop: Header=BB3_3 Depth=1
	global_load_dwordx2 v[0:1], v[0:1], off
	s_and_saveexec_b64 s[16:17], s[4:5]
	s_cbranch_execz .LBB3_937
; %bb.934:                              ;   in Loop: Header=BB3_3 Depth=1
	global_load_dwordx2 v[6:7], v51, s[12:13] offset:40
	global_load_dwordx2 v[8:9], v51, s[12:13] offset:24 glc
	global_load_dwordx2 v[10:11], v51, s[12:13]
	v_mov_b32_e32 v3, s15
	s_waitcnt vmcnt(2)
	v_add_co_u32_e32 v5, vcc, 1, v6
	v_addc_co_u32_e32 v12, vcc, 0, v7, vcc
	v_add_co_u32_e32 v2, vcc, s14, v5
	v_addc_co_u32_e32 v3, vcc, v12, v3, vcc
	v_cmp_eq_u64_e32 vcc, 0, v[2:3]
	v_cndmask_b32_e32 v3, v3, v12, vcc
	v_cndmask_b32_e32 v2, v2, v5, vcc
	v_and_b32_e32 v5, v3, v7
	v_and_b32_e32 v6, v2, v6
	v_mul_lo_u32 v5, v5, 24
	v_mul_hi_u32 v7, v6, 24
	v_mul_lo_u32 v6, v6, 24
	v_add_u32_e32 v5, v7, v5
	s_waitcnt vmcnt(0)
	v_add_co_u32_e32 v6, vcc, v10, v6
	v_addc_co_u32_e32 v7, vcc, v11, v5, vcc
	v_mov_b32_e32 v4, v8
	global_store_dwordx2 v[6:7], v[8:9], off
	v_mov_b32_e32 v5, v9
	buffer_wbl2
	s_waitcnt vmcnt(0)
	global_atomic_cmpswap_x2 v[4:5], v51, v[2:5], s[12:13] offset:24 glc
	s_waitcnt vmcnt(0)
	v_cmp_ne_u64_e32 vcc, v[4:5], v[8:9]
	s_and_b64 exec, exec, vcc
	s_cbranch_execz .LBB3_937
; %bb.935:                              ;   in Loop: Header=BB3_3 Depth=1
	s_mov_b64 s[4:5], 0
.LBB3_936:                              ;   Parent Loop BB3_3 Depth=1
                                        ; =>  This Inner Loop Header: Depth=2
	s_sleep 1
	global_store_dwordx2 v[6:7], v[4:5], off
	buffer_wbl2
	s_waitcnt vmcnt(0)
	global_atomic_cmpswap_x2 v[8:9], v51, v[2:5], s[12:13] offset:24 glc
	s_waitcnt vmcnt(0)
	v_cmp_eq_u64_e32 vcc, v[8:9], v[4:5]
	s_or_b64 s[4:5], vcc, s[4:5]
	v_pk_mov_b32 v[4:5], v[8:9], v[8:9] op_sel:[0,1]
	s_andn2_b64 exec, exec, s[4:5]
	s_cbranch_execnz .LBB3_936
.LBB3_937:                              ;   in Loop: Header=BB3_3 Depth=1
	s_or_b64 exec, exec, s[16:17]
	s_and_b64 vcc, exec, s[46:47]
	s_cbranch_vccz .LBB3_1111
; %bb.938:                              ;   in Loop: Header=BB3_3 Depth=1
	s_waitcnt vmcnt(0)
	v_and_b32_e32 v22, 2, v0
	v_and_b32_e32 v2, -3, v0
	v_mov_b32_e32 v3, v1
	s_mov_b64 s[16:17], 34
	s_getpc_b64 s[14:15]
	s_add_u32 s14, s14, .str.2@rel32@lo+4
	s_addc_u32 s15, s15, .str.2@rel32@hi+12
	s_branch .LBB3_940
.LBB3_939:                              ;   in Loop: Header=BB3_940 Depth=2
	s_or_b64 exec, exec, s[22:23]
	s_sub_u32 s16, s16, s18
	s_subb_u32 s17, s17, s19
	s_add_u32 s14, s14, s18
	s_addc_u32 s15, s15, s19
	s_cmp_lg_u64 s[16:17], 0
	s_cbranch_scc0 .LBB3_1109
.LBB3_940:                              ;   Parent Loop BB3_3 Depth=1
                                        ; =>  This Loop Header: Depth=2
                                        ;       Child Loop BB3_943 Depth 3
                                        ;       Child Loop BB3_950 Depth 3
	;; [unrolled: 1-line block ×11, first 2 shown]
	v_cmp_lt_u64_e64 s[4:5], s[16:17], 56
	s_and_b64 s[4:5], s[4:5], exec
	v_cmp_gt_u64_e64 s[4:5], s[16:17], 7
	s_cselect_b32 s19, s17, 0
	s_cselect_b32 s18, s16, 56
	s_and_b64 vcc, exec, s[4:5]
	s_cbranch_vccnz .LBB3_945
; %bb.941:                              ;   in Loop: Header=BB3_940 Depth=2
	s_mov_b64 s[4:5], 0
	s_cmp_eq_u64 s[16:17], 0
	s_waitcnt vmcnt(0)
	v_pk_mov_b32 v[4:5], 0, 0
	s_cbranch_scc1 .LBB3_944
; %bb.942:                              ;   in Loop: Header=BB3_940 Depth=2
	s_lshl_b64 s[20:21], s[18:19], 3
	s_mov_b64 s[22:23], 0
	v_pk_mov_b32 v[4:5], 0, 0
	s_mov_b64 s[24:25], s[14:15]
.LBB3_943:                              ;   Parent Loop BB3_3 Depth=1
                                        ;     Parent Loop BB3_940 Depth=2
                                        ; =>    This Inner Loop Header: Depth=3
	global_load_ubyte v6, v51, s[24:25]
	s_waitcnt vmcnt(0)
	v_and_b32_e32 v50, 0xffff, v6
	v_lshlrev_b64 v[6:7], s22, v[50:51]
	s_add_u32 s22, s22, 8
	s_addc_u32 s23, s23, 0
	s_add_u32 s24, s24, 1
	s_addc_u32 s25, s25, 0
	v_or_b32_e32 v4, v6, v4
	s_cmp_lg_u32 s20, s22
	v_or_b32_e32 v5, v7, v5
	s_cbranch_scc1 .LBB3_943
.LBB3_944:                              ;   in Loop: Header=BB3_940 Depth=2
	s_mov_b32 s24, 0
	s_andn2_b64 vcc, exec, s[4:5]
	s_mov_b64 s[4:5], s[14:15]
	s_cbranch_vccz .LBB3_946
	s_branch .LBB3_947
.LBB3_945:                              ;   in Loop: Header=BB3_940 Depth=2
                                        ; implicit-def: $vgpr4_vgpr5
                                        ; implicit-def: $sgpr24
	s_mov_b64 s[4:5], s[14:15]
.LBB3_946:                              ;   in Loop: Header=BB3_940 Depth=2
	global_load_dwordx2 v[4:5], v51, s[14:15]
	s_add_i32 s24, s18, -8
	s_add_u32 s4, s14, 8
	s_addc_u32 s5, s15, 0
.LBB3_947:                              ;   in Loop: Header=BB3_940 Depth=2
	s_cmp_gt_u32 s24, 7
	s_cbranch_scc1 .LBB3_951
; %bb.948:                              ;   in Loop: Header=BB3_940 Depth=2
	s_cmp_eq_u32 s24, 0
	s_cbranch_scc1 .LBB3_952
; %bb.949:                              ;   in Loop: Header=BB3_940 Depth=2
	s_mov_b64 s[20:21], 0
	v_pk_mov_b32 v[6:7], 0, 0
	s_mov_b64 s[22:23], 0
.LBB3_950:                              ;   Parent Loop BB3_3 Depth=1
                                        ;     Parent Loop BB3_940 Depth=2
                                        ; =>    This Inner Loop Header: Depth=3
	s_add_u32 vcc_lo, s4, s22
	s_addc_u32 vcc_hi, s5, s23
	global_load_ubyte v8, v51, vcc
	s_add_u32 s22, s22, 1
	s_addc_u32 s23, s23, 0
	s_waitcnt vmcnt(0)
	v_and_b32_e32 v50, 0xffff, v8
	v_lshlrev_b64 v[8:9], s20, v[50:51]
	s_add_u32 s20, s20, 8
	s_addc_u32 s21, s21, 0
	v_or_b32_e32 v6, v8, v6
	s_cmp_lg_u32 s24, s22
	v_or_b32_e32 v7, v9, v7
	s_cbranch_scc1 .LBB3_950
	s_branch .LBB3_953
.LBB3_951:                              ;   in Loop: Header=BB3_940 Depth=2
                                        ; implicit-def: $vgpr6_vgpr7
                                        ; implicit-def: $sgpr25
	s_branch .LBB3_954
.LBB3_952:                              ;   in Loop: Header=BB3_940 Depth=2
	v_pk_mov_b32 v[6:7], 0, 0
.LBB3_953:                              ;   in Loop: Header=BB3_940 Depth=2
	s_mov_b32 s25, 0
	s_cbranch_execnz .LBB3_955
.LBB3_954:                              ;   in Loop: Header=BB3_940 Depth=2
	global_load_dwordx2 v[6:7], v51, s[4:5]
	s_add_i32 s25, s24, -8
	s_add_u32 s4, s4, 8
	s_addc_u32 s5, s5, 0
.LBB3_955:                              ;   in Loop: Header=BB3_940 Depth=2
	s_cmp_gt_u32 s25, 7
	s_cbranch_scc1 .LBB3_959
; %bb.956:                              ;   in Loop: Header=BB3_940 Depth=2
	s_cmp_eq_u32 s25, 0
	s_cbranch_scc1 .LBB3_960
; %bb.957:                              ;   in Loop: Header=BB3_940 Depth=2
	s_mov_b64 s[20:21], 0
	v_pk_mov_b32 v[8:9], 0, 0
	s_mov_b64 s[22:23], 0
.LBB3_958:                              ;   Parent Loop BB3_3 Depth=1
                                        ;     Parent Loop BB3_940 Depth=2
                                        ; =>    This Inner Loop Header: Depth=3
	s_add_u32 vcc_lo, s4, s22
	s_addc_u32 vcc_hi, s5, s23
	global_load_ubyte v10, v51, vcc
	s_add_u32 s22, s22, 1
	s_addc_u32 s23, s23, 0
	s_waitcnt vmcnt(0)
	v_and_b32_e32 v50, 0xffff, v10
	v_lshlrev_b64 v[10:11], s20, v[50:51]
	s_add_u32 s20, s20, 8
	s_addc_u32 s21, s21, 0
	v_or_b32_e32 v8, v10, v8
	s_cmp_lg_u32 s25, s22
	v_or_b32_e32 v9, v11, v9
	s_cbranch_scc1 .LBB3_958
	s_branch .LBB3_961
.LBB3_959:                              ;   in Loop: Header=BB3_940 Depth=2
                                        ; implicit-def: $sgpr24
	s_branch .LBB3_962
.LBB3_960:                              ;   in Loop: Header=BB3_940 Depth=2
	v_pk_mov_b32 v[8:9], 0, 0
.LBB3_961:                              ;   in Loop: Header=BB3_940 Depth=2
	s_mov_b32 s24, 0
	s_cbranch_execnz .LBB3_963
.LBB3_962:                              ;   in Loop: Header=BB3_940 Depth=2
	global_load_dwordx2 v[8:9], v51, s[4:5]
	s_add_i32 s24, s25, -8
	s_add_u32 s4, s4, 8
	s_addc_u32 s5, s5, 0
.LBB3_963:                              ;   in Loop: Header=BB3_940 Depth=2
	s_cmp_gt_u32 s24, 7
	s_cbranch_scc1 .LBB3_967
; %bb.964:                              ;   in Loop: Header=BB3_940 Depth=2
	s_cmp_eq_u32 s24, 0
	s_cbranch_scc1 .LBB3_968
; %bb.965:                              ;   in Loop: Header=BB3_940 Depth=2
	s_mov_b64 s[20:21], 0
	v_pk_mov_b32 v[10:11], 0, 0
	s_mov_b64 s[22:23], 0
.LBB3_966:                              ;   Parent Loop BB3_3 Depth=1
                                        ;     Parent Loop BB3_940 Depth=2
                                        ; =>    This Inner Loop Header: Depth=3
	s_add_u32 vcc_lo, s4, s22
	s_addc_u32 vcc_hi, s5, s23
	global_load_ubyte v12, v51, vcc
	s_add_u32 s22, s22, 1
	s_addc_u32 s23, s23, 0
	s_waitcnt vmcnt(0)
	v_and_b32_e32 v50, 0xffff, v12
	v_lshlrev_b64 v[12:13], s20, v[50:51]
	s_add_u32 s20, s20, 8
	s_addc_u32 s21, s21, 0
	v_or_b32_e32 v10, v12, v10
	s_cmp_lg_u32 s24, s22
	v_or_b32_e32 v11, v13, v11
	s_cbranch_scc1 .LBB3_966
	s_branch .LBB3_969
.LBB3_967:                              ;   in Loop: Header=BB3_940 Depth=2
                                        ; implicit-def: $vgpr10_vgpr11
                                        ; implicit-def: $sgpr25
	s_branch .LBB3_970
.LBB3_968:                              ;   in Loop: Header=BB3_940 Depth=2
	v_pk_mov_b32 v[10:11], 0, 0
.LBB3_969:                              ;   in Loop: Header=BB3_940 Depth=2
	s_mov_b32 s25, 0
	s_cbranch_execnz .LBB3_971
.LBB3_970:                              ;   in Loop: Header=BB3_940 Depth=2
	global_load_dwordx2 v[10:11], v51, s[4:5]
	s_add_i32 s25, s24, -8
	s_add_u32 s4, s4, 8
	s_addc_u32 s5, s5, 0
.LBB3_971:                              ;   in Loop: Header=BB3_940 Depth=2
	s_cmp_gt_u32 s25, 7
	s_cbranch_scc1 .LBB3_975
; %bb.972:                              ;   in Loop: Header=BB3_940 Depth=2
	s_cmp_eq_u32 s25, 0
	s_cbranch_scc1 .LBB3_976
; %bb.973:                              ;   in Loop: Header=BB3_940 Depth=2
	s_mov_b64 s[20:21], 0
	v_pk_mov_b32 v[12:13], 0, 0
	s_mov_b64 s[22:23], 0
.LBB3_974:                              ;   Parent Loop BB3_3 Depth=1
                                        ;     Parent Loop BB3_940 Depth=2
                                        ; =>    This Inner Loop Header: Depth=3
	s_add_u32 vcc_lo, s4, s22
	s_addc_u32 vcc_hi, s5, s23
	global_load_ubyte v14, v51, vcc
	s_add_u32 s22, s22, 1
	s_addc_u32 s23, s23, 0
	s_waitcnt vmcnt(0)
	v_and_b32_e32 v50, 0xffff, v14
	v_lshlrev_b64 v[14:15], s20, v[50:51]
	s_add_u32 s20, s20, 8
	s_addc_u32 s21, s21, 0
	v_or_b32_e32 v12, v14, v12
	s_cmp_lg_u32 s25, s22
	v_or_b32_e32 v13, v15, v13
	s_cbranch_scc1 .LBB3_974
	s_branch .LBB3_977
.LBB3_975:                              ;   in Loop: Header=BB3_940 Depth=2
                                        ; implicit-def: $sgpr24
	s_branch .LBB3_978
.LBB3_976:                              ;   in Loop: Header=BB3_940 Depth=2
	v_pk_mov_b32 v[12:13], 0, 0
.LBB3_977:                              ;   in Loop: Header=BB3_940 Depth=2
	s_mov_b32 s24, 0
	s_cbranch_execnz .LBB3_979
.LBB3_978:                              ;   in Loop: Header=BB3_940 Depth=2
	global_load_dwordx2 v[12:13], v51, s[4:5]
	s_add_i32 s24, s25, -8
	s_add_u32 s4, s4, 8
	s_addc_u32 s5, s5, 0
.LBB3_979:                              ;   in Loop: Header=BB3_940 Depth=2
	s_cmp_gt_u32 s24, 7
	s_cbranch_scc1 .LBB3_983
; %bb.980:                              ;   in Loop: Header=BB3_940 Depth=2
	s_cmp_eq_u32 s24, 0
	s_cbranch_scc1 .LBB3_984
; %bb.981:                              ;   in Loop: Header=BB3_940 Depth=2
	s_mov_b64 s[20:21], 0
	v_pk_mov_b32 v[14:15], 0, 0
	s_mov_b64 s[22:23], 0
.LBB3_982:                              ;   Parent Loop BB3_3 Depth=1
                                        ;     Parent Loop BB3_940 Depth=2
                                        ; =>    This Inner Loop Header: Depth=3
	s_add_u32 vcc_lo, s4, s22
	s_addc_u32 vcc_hi, s5, s23
	global_load_ubyte v16, v51, vcc
	s_add_u32 s22, s22, 1
	s_addc_u32 s23, s23, 0
	s_waitcnt vmcnt(0)
	v_and_b32_e32 v50, 0xffff, v16
	v_lshlrev_b64 v[16:17], s20, v[50:51]
	s_add_u32 s20, s20, 8
	s_addc_u32 s21, s21, 0
	v_or_b32_e32 v14, v16, v14
	s_cmp_lg_u32 s24, s22
	v_or_b32_e32 v15, v17, v15
	s_cbranch_scc1 .LBB3_982
	s_branch .LBB3_985
.LBB3_983:                              ;   in Loop: Header=BB3_940 Depth=2
                                        ; implicit-def: $vgpr14_vgpr15
                                        ; implicit-def: $sgpr25
	s_branch .LBB3_986
.LBB3_984:                              ;   in Loop: Header=BB3_940 Depth=2
	v_pk_mov_b32 v[14:15], 0, 0
.LBB3_985:                              ;   in Loop: Header=BB3_940 Depth=2
	s_mov_b32 s25, 0
	s_cbranch_execnz .LBB3_987
.LBB3_986:                              ;   in Loop: Header=BB3_940 Depth=2
	global_load_dwordx2 v[14:15], v51, s[4:5]
	s_add_i32 s25, s24, -8
	s_add_u32 s4, s4, 8
	s_addc_u32 s5, s5, 0
.LBB3_987:                              ;   in Loop: Header=BB3_940 Depth=2
	s_cmp_gt_u32 s25, 7
	s_cbranch_scc1 .LBB3_991
; %bb.988:                              ;   in Loop: Header=BB3_940 Depth=2
	s_cmp_eq_u32 s25, 0
	s_cbranch_scc1 .LBB3_992
; %bb.989:                              ;   in Loop: Header=BB3_940 Depth=2
	s_mov_b64 s[20:21], 0
	v_pk_mov_b32 v[16:17], 0, 0
	s_mov_b64 s[22:23], s[4:5]
.LBB3_990:                              ;   Parent Loop BB3_3 Depth=1
                                        ;     Parent Loop BB3_940 Depth=2
                                        ; =>    This Inner Loop Header: Depth=3
	global_load_ubyte v18, v51, s[22:23]
	s_add_i32 s25, s25, -1
	s_waitcnt vmcnt(0)
	v_and_b32_e32 v50, 0xffff, v18
	v_lshlrev_b64 v[18:19], s20, v[50:51]
	s_add_u32 s20, s20, 8
	s_addc_u32 s21, s21, 0
	s_add_u32 s22, s22, 1
	s_addc_u32 s23, s23, 0
	v_or_b32_e32 v16, v18, v16
	s_cmp_lg_u32 s25, 0
	v_or_b32_e32 v17, v19, v17
	s_cbranch_scc1 .LBB3_990
	s_branch .LBB3_993
.LBB3_991:                              ;   in Loop: Header=BB3_940 Depth=2
	s_branch .LBB3_994
.LBB3_992:                              ;   in Loop: Header=BB3_940 Depth=2
	v_pk_mov_b32 v[16:17], 0, 0
.LBB3_993:                              ;   in Loop: Header=BB3_940 Depth=2
	s_cbranch_execnz .LBB3_995
.LBB3_994:                              ;   in Loop: Header=BB3_940 Depth=2
	global_load_dwordx2 v[16:17], v51, s[4:5]
.LBB3_995:                              ;   in Loop: Header=BB3_940 Depth=2
	v_readfirstlane_b32 s4, v57
	v_cmp_eq_u32_e64 s[4:5], s4, v57
	v_pk_mov_b32 v[24:25], 0, 0
	s_and_saveexec_b64 s[20:21], s[4:5]
	s_cbranch_execz .LBB3_1001
; %bb.996:                              ;   in Loop: Header=BB3_940 Depth=2
	global_load_dwordx2 v[20:21], v51, s[12:13] offset:24 glc
	s_waitcnt vmcnt(0)
	buffer_invl2
	buffer_wbinvl1_vol
	global_load_dwordx2 v[18:19], v51, s[12:13] offset:40
	global_load_dwordx2 v[24:25], v51, s[12:13]
	s_waitcnt vmcnt(1)
	v_and_b32_e32 v18, v18, v20
	v_and_b32_e32 v19, v19, v21
	v_mul_lo_u32 v19, v19, 24
	v_mul_hi_u32 v29, v18, 24
	v_mul_lo_u32 v18, v18, 24
	v_add_u32_e32 v19, v29, v19
	s_waitcnt vmcnt(0)
	v_add_co_u32_e32 v18, vcc, v24, v18
	v_addc_co_u32_e32 v19, vcc, v25, v19, vcc
	global_load_dwordx2 v[18:19], v[18:19], off glc
	s_waitcnt vmcnt(0)
	global_atomic_cmpswap_x2 v[24:25], v51, v[18:21], s[12:13] offset:24 glc
	s_waitcnt vmcnt(0)
	buffer_invl2
	buffer_wbinvl1_vol
	v_cmp_ne_u64_e32 vcc, v[24:25], v[20:21]
	s_and_saveexec_b64 s[22:23], vcc
	s_cbranch_execz .LBB3_1000
; %bb.997:                              ;   in Loop: Header=BB3_940 Depth=2
	s_mov_b64 s[24:25], 0
.LBB3_998:                              ;   Parent Loop BB3_3 Depth=1
                                        ;     Parent Loop BB3_940 Depth=2
                                        ; =>    This Inner Loop Header: Depth=3
	s_sleep 1
	global_load_dwordx2 v[18:19], v51, s[12:13] offset:40
	global_load_dwordx2 v[30:31], v51, s[12:13]
	v_pk_mov_b32 v[20:21], v[24:25], v[24:25] op_sel:[0,1]
	s_waitcnt vmcnt(1)
	v_and_b32_e32 v18, v18, v20
	v_and_b32_e32 v25, v19, v21
	s_waitcnt vmcnt(0)
	v_mad_u64_u32 v[18:19], vcc, v18, 24, v[30:31]
	v_mov_b32_e32 v24, v19
	v_mad_u64_u32 v[24:25], vcc, v25, 24, v[24:25]
	v_mov_b32_e32 v19, v24
	global_load_dwordx2 v[18:19], v[18:19], off glc
	s_waitcnt vmcnt(0)
	global_atomic_cmpswap_x2 v[24:25], v51, v[18:21], s[12:13] offset:24 glc
	s_waitcnt vmcnt(0)
	buffer_invl2
	buffer_wbinvl1_vol
	v_cmp_eq_u64_e32 vcc, v[24:25], v[20:21]
	s_or_b64 s[24:25], vcc, s[24:25]
	s_andn2_b64 exec, exec, s[24:25]
	s_cbranch_execnz .LBB3_998
; %bb.999:                              ;   in Loop: Header=BB3_940 Depth=2
	s_or_b64 exec, exec, s[24:25]
.LBB3_1000:                             ;   in Loop: Header=BB3_940 Depth=2
	s_or_b64 exec, exec, s[22:23]
.LBB3_1001:                             ;   in Loop: Header=BB3_940 Depth=2
	s_or_b64 exec, exec, s[20:21]
	global_load_dwordx2 v[30:31], v51, s[12:13] offset:40
	global_load_dwordx4 v[18:21], v51, s[12:13]
	v_readfirstlane_b32 s20, v24
	v_readfirstlane_b32 s21, v25
	s_mov_b64 s[22:23], exec
	s_waitcnt vmcnt(1)
	v_readfirstlane_b32 s24, v30
	v_readfirstlane_b32 s25, v31
	s_and_b64 s[24:25], s[20:21], s[24:25]
	s_mul_i32 s29, s25, 24
	s_mul_hi_u32 vcc_lo, s24, 24
	s_mul_i32 vcc_hi, s24, 24
	s_add_i32 s29, vcc_lo, s29
	v_mov_b32_e32 v25, s29
	s_waitcnt vmcnt(0)
	v_add_co_u32_e32 v24, vcc, vcc_hi, v18
	v_addc_co_u32_e32 v25, vcc, v19, v25, vcc
	s_and_saveexec_b64 vcc, s[4:5]
	s_cbranch_execz .LBB3_1003
; %bb.1002:                             ;   in Loop: Header=BB3_940 Depth=2
	v_pk_mov_b32 v[40:41], s[22:23], s[22:23] op_sel:[0,1]
	global_store_dwordx4 v[24:25], v[40:43], off offset:8
.LBB3_1003:                             ;   in Loop: Header=BB3_940 Depth=2
	s_or_b64 exec, exec, vcc
	s_lshl_b64 s[22:23], s[24:25], 12
	v_mov_b32_e32 v29, s23
	v_add_co_u32_e32 v20, vcc, s22, v20
	v_addc_co_u32_e32 v21, vcc, v21, v29, vcc
	v_or_b32_e32 v30, v2, v22
	v_cmp_gt_u64_e64 vcc, s[16:17], 56
	s_lshl_b32 s22, s18, 2
	v_cndmask_b32_e32 v2, v30, v2, vcc
	s_add_i32 s22, s22, 28
	v_or_b32_e32 v29, 0, v3
	s_and_b32 s22, s22, 0x1e0
	v_and_b32_e32 v2, 0xffffff1f, v2
	v_cndmask_b32_e32 v3, v29, v3, vcc
	v_or_b32_e32 v2, s22, v2
	v_readfirstlane_b32 s22, v20
	v_readfirstlane_b32 s23, v21
	s_nop 4
	global_store_dwordx4 v27, v[2:5], s[22:23]
	global_store_dwordx4 v27, v[6:9], s[22:23] offset:16
	global_store_dwordx4 v27, v[10:13], s[22:23] offset:32
	global_store_dwordx4 v27, v[14:17], s[22:23] offset:48
	s_and_saveexec_b64 s[22:23], s[4:5]
	s_cbranch_execz .LBB3_1011
; %bb.1004:                             ;   in Loop: Header=BB3_940 Depth=2
	global_load_dwordx2 v[10:11], v51, s[12:13] offset:32 glc
	global_load_dwordx2 v[2:3], v51, s[12:13] offset:40
	v_mov_b32_e32 v8, s20
	v_mov_b32_e32 v9, s21
	s_waitcnt vmcnt(0)
	v_readfirstlane_b32 s24, v2
	v_readfirstlane_b32 s25, v3
	s_and_b64 s[24:25], s[24:25], s[20:21]
	s_mul_i32 s25, s25, 24
	s_mul_hi_u32 s29, s24, 24
	s_mul_i32 s24, s24, 24
	s_add_i32 s25, s29, s25
	v_mov_b32_e32 v2, s25
	v_add_co_u32_e32 v6, vcc, s24, v18
	v_addc_co_u32_e32 v7, vcc, v19, v2, vcc
	global_store_dwordx2 v[6:7], v[10:11], off
	buffer_wbl2
	s_waitcnt vmcnt(0)
	global_atomic_cmpswap_x2 v[4:5], v51, v[8:11], s[12:13] offset:32 glc
	s_waitcnt vmcnt(0)
	v_cmp_ne_u64_e32 vcc, v[4:5], v[10:11]
	s_and_saveexec_b64 s[24:25], vcc
	s_cbranch_execz .LBB3_1007
; %bb.1005:                             ;   in Loop: Header=BB3_940 Depth=2
	s_mov_b64 s[30:31], 0
.LBB3_1006:                             ;   Parent Loop BB3_3 Depth=1
                                        ;     Parent Loop BB3_940 Depth=2
                                        ; =>    This Inner Loop Header: Depth=3
	s_sleep 1
	global_store_dwordx2 v[6:7], v[4:5], off
	v_mov_b32_e32 v2, s20
	v_mov_b32_e32 v3, s21
	buffer_wbl2
	s_waitcnt vmcnt(0)
	global_atomic_cmpswap_x2 v[2:3], v51, v[2:5], s[12:13] offset:32 glc
	s_waitcnt vmcnt(0)
	v_cmp_eq_u64_e32 vcc, v[2:3], v[4:5]
	s_or_b64 s[30:31], vcc, s[30:31]
	v_pk_mov_b32 v[4:5], v[2:3], v[2:3] op_sel:[0,1]
	s_andn2_b64 exec, exec, s[30:31]
	s_cbranch_execnz .LBB3_1006
.LBB3_1007:                             ;   in Loop: Header=BB3_940 Depth=2
	s_or_b64 exec, exec, s[24:25]
	global_load_dwordx2 v[2:3], v51, s[12:13] offset:16
	s_mov_b64 s[30:31], exec
	v_mbcnt_lo_u32_b32 v4, s30, 0
	v_mbcnt_hi_u32_b32 v4, s31, v4
	v_cmp_eq_u32_e32 vcc, 0, v4
	s_and_saveexec_b64 s[24:25], vcc
	s_cbranch_execz .LBB3_1009
; %bb.1008:                             ;   in Loop: Header=BB3_940 Depth=2
	s_bcnt1_i32_b64 s29, s[30:31]
	v_mov_b32_e32 v50, s29
	buffer_wbl2
	s_waitcnt vmcnt(0)
	global_atomic_add_x2 v[2:3], v[50:51], off offset:8
.LBB3_1009:                             ;   in Loop: Header=BB3_940 Depth=2
	s_or_b64 exec, exec, s[24:25]
	s_waitcnt vmcnt(0)
	global_load_dwordx2 v[4:5], v[2:3], off offset:16
	s_waitcnt vmcnt(0)
	v_cmp_eq_u64_e32 vcc, 0, v[4:5]
	s_cbranch_vccnz .LBB3_1011
; %bb.1010:                             ;   in Loop: Header=BB3_940 Depth=2
	global_load_dword v50, v[2:3], off offset:24
	s_waitcnt vmcnt(0)
	v_and_b32_e32 v2, 0xffffff, v50
	v_readfirstlane_b32 m0, v2
	buffer_wbl2
	global_store_dwordx2 v[4:5], v[50:51], off
	s_sendmsg sendmsg(MSG_INTERRUPT)
.LBB3_1011:                             ;   in Loop: Header=BB3_940 Depth=2
	s_or_b64 exec, exec, s[22:23]
	v_add_co_u32_e32 v2, vcc, v20, v27
	v_addc_co_u32_e32 v3, vcc, 0, v21, vcc
	s_branch .LBB3_1015
.LBB3_1012:                             ;   in Loop: Header=BB3_1015 Depth=3
	s_or_b64 exec, exec, s[22:23]
	v_readfirstlane_b32 s22, v4
	s_cmp_eq_u32 s22, 0
	s_cbranch_scc1 .LBB3_1014
; %bb.1013:                             ;   in Loop: Header=BB3_1015 Depth=3
	s_sleep 1
	s_cbranch_execnz .LBB3_1015
	s_branch .LBB3_1017
.LBB3_1014:                             ;   in Loop: Header=BB3_940 Depth=2
	s_branch .LBB3_1017
.LBB3_1015:                             ;   Parent Loop BB3_3 Depth=1
                                        ;     Parent Loop BB3_940 Depth=2
                                        ; =>    This Inner Loop Header: Depth=3
	v_mov_b32_e32 v4, 1
	s_and_saveexec_b64 s[22:23], s[4:5]
	s_cbranch_execz .LBB3_1012
; %bb.1016:                             ;   in Loop: Header=BB3_1015 Depth=3
	global_load_dword v4, v[24:25], off offset:20 glc
	s_waitcnt vmcnt(0)
	buffer_invl2
	buffer_wbinvl1_vol
	v_and_b32_e32 v4, 1, v4
	s_branch .LBB3_1012
.LBB3_1017:                             ;   in Loop: Header=BB3_940 Depth=2
	global_load_dwordx4 v[2:5], v[2:3], off
	s_and_saveexec_b64 s[22:23], s[4:5]
	s_cbranch_execz .LBB3_939
; %bb.1018:                             ;   in Loop: Header=BB3_940 Depth=2
	global_load_dwordx2 v[8:9], v51, s[12:13] offset:40
	global_load_dwordx2 v[10:11], v51, s[12:13] offset:24 glc
	global_load_dwordx2 v[12:13], v51, s[12:13]
	s_waitcnt vmcnt(3)
	v_mov_b32_e32 v5, s21
	s_waitcnt vmcnt(2)
	v_add_co_u32_e32 v7, vcc, 1, v8
	v_addc_co_u32_e32 v14, vcc, 0, v9, vcc
	v_add_co_u32_e32 v4, vcc, s20, v7
	v_addc_co_u32_e32 v5, vcc, v14, v5, vcc
	v_cmp_eq_u64_e32 vcc, 0, v[4:5]
	v_cndmask_b32_e32 v5, v5, v14, vcc
	v_cndmask_b32_e32 v4, v4, v7, vcc
	v_and_b32_e32 v7, v5, v9
	v_and_b32_e32 v8, v4, v8
	v_mul_lo_u32 v7, v7, 24
	v_mul_hi_u32 v9, v8, 24
	v_mul_lo_u32 v8, v8, 24
	v_add_u32_e32 v7, v9, v7
	s_waitcnt vmcnt(0)
	v_add_co_u32_e32 v8, vcc, v12, v8
	v_addc_co_u32_e32 v9, vcc, v13, v7, vcc
	v_mov_b32_e32 v6, v10
	global_store_dwordx2 v[8:9], v[10:11], off
	v_mov_b32_e32 v7, v11
	buffer_wbl2
	s_waitcnt vmcnt(0)
	global_atomic_cmpswap_x2 v[6:7], v51, v[4:7], s[12:13] offset:24 glc
	s_waitcnt vmcnt(0)
	v_cmp_ne_u64_e32 vcc, v[6:7], v[10:11]
	s_and_b64 exec, exec, vcc
	s_cbranch_execz .LBB3_939
; %bb.1019:                             ;   in Loop: Header=BB3_940 Depth=2
	s_mov_b64 s[4:5], 0
.LBB3_1020:                             ;   Parent Loop BB3_3 Depth=1
                                        ;     Parent Loop BB3_940 Depth=2
                                        ; =>    This Inner Loop Header: Depth=3
	s_sleep 1
	global_store_dwordx2 v[8:9], v[6:7], off
	buffer_wbl2
	s_waitcnt vmcnt(0)
	global_atomic_cmpswap_x2 v[10:11], v51, v[4:7], s[12:13] offset:24 glc
	s_waitcnt vmcnt(0)
	v_cmp_eq_u64_e32 vcc, v[10:11], v[6:7]
	s_or_b64 s[4:5], vcc, s[4:5]
	v_pk_mov_b32 v[6:7], v[10:11], v[10:11] op_sel:[0,1]
	s_andn2_b64 exec, exec, s[4:5]
	s_cbranch_execnz .LBB3_1020
	s_branch .LBB3_939
.LBB3_1021:                             ;   in Loop: Header=BB3_3 Depth=1
	global_load_dwordx2 v[0:1], v[0:1], off
	s_and_saveexec_b64 s[16:17], s[4:5]
	s_cbranch_execz .LBB3_1025
; %bb.1022:                             ;   in Loop: Header=BB3_3 Depth=1
	global_load_dwordx2 v[6:7], v51, s[12:13] offset:40
	global_load_dwordx2 v[8:9], v51, s[12:13] offset:24 glc
	global_load_dwordx2 v[10:11], v51, s[12:13]
	v_mov_b32_e32 v3, s15
	s_waitcnt vmcnt(2)
	v_add_co_u32_e32 v5, vcc, 1, v6
	v_addc_co_u32_e32 v12, vcc, 0, v7, vcc
	v_add_co_u32_e32 v2, vcc, s14, v5
	v_addc_co_u32_e32 v3, vcc, v12, v3, vcc
	v_cmp_eq_u64_e32 vcc, 0, v[2:3]
	v_cndmask_b32_e32 v3, v3, v12, vcc
	v_cndmask_b32_e32 v2, v2, v5, vcc
	v_and_b32_e32 v5, v3, v7
	v_and_b32_e32 v6, v2, v6
	v_mul_lo_u32 v5, v5, 24
	v_mul_hi_u32 v7, v6, 24
	v_mul_lo_u32 v6, v6, 24
	v_add_u32_e32 v5, v7, v5
	s_waitcnt vmcnt(0)
	v_add_co_u32_e32 v6, vcc, v10, v6
	v_addc_co_u32_e32 v7, vcc, v11, v5, vcc
	v_mov_b32_e32 v4, v8
	global_store_dwordx2 v[6:7], v[8:9], off
	v_mov_b32_e32 v5, v9
	buffer_wbl2
	s_waitcnt vmcnt(0)
	global_atomic_cmpswap_x2 v[4:5], v51, v[2:5], s[12:13] offset:24 glc
	s_waitcnt vmcnt(0)
	v_cmp_ne_u64_e32 vcc, v[4:5], v[8:9]
	s_and_b64 exec, exec, vcc
	s_cbranch_execz .LBB3_1025
; %bb.1023:                             ;   in Loop: Header=BB3_3 Depth=1
	s_mov_b64 s[4:5], 0
.LBB3_1024:                             ;   Parent Loop BB3_3 Depth=1
                                        ; =>  This Inner Loop Header: Depth=2
	s_sleep 1
	global_store_dwordx2 v[6:7], v[4:5], off
	buffer_wbl2
	s_waitcnt vmcnt(0)
	global_atomic_cmpswap_x2 v[8:9], v51, v[2:5], s[12:13] offset:24 glc
	s_waitcnt vmcnt(0)
	v_cmp_eq_u64_e32 vcc, v[8:9], v[4:5]
	s_or_b64 s[4:5], vcc, s[4:5]
	v_pk_mov_b32 v[4:5], v[8:9], v[8:9] op_sel:[0,1]
	s_andn2_b64 exec, exec, s[4:5]
	s_cbranch_execnz .LBB3_1024
.LBB3_1025:                             ;   in Loop: Header=BB3_3 Depth=1
	s_or_b64 exec, exec, s[16:17]
	s_and_b64 vcc, exec, s[44:45]
	s_cbranch_vccz .LBB3_1218
; %bb.1026:                             ;   in Loop: Header=BB3_3 Depth=1
	s_waitcnt vmcnt(0)
	v_and_b32_e32 v22, 2, v0
	v_and_b32_e32 v2, -3, v0
	v_mov_b32_e32 v3, v1
	s_mov_b64 s[16:17], 34
	s_getpc_b64 s[14:15]
	s_add_u32 s14, s14, .str@rel32@lo+4
	s_addc_u32 s15, s15, .str@rel32@hi+12
	s_branch .LBB3_1028
.LBB3_1027:                             ;   in Loop: Header=BB3_1028 Depth=2
	s_or_b64 exec, exec, s[22:23]
	s_sub_u32 s16, s16, s18
	s_subb_u32 s17, s17, s19
	s_add_u32 s14, s14, s18
	s_addc_u32 s15, s15, s19
	s_cmp_lg_u64 s[16:17], 0
	s_cbranch_scc0 .LBB3_1110
.LBB3_1028:                             ;   Parent Loop BB3_3 Depth=1
                                        ; =>  This Loop Header: Depth=2
                                        ;       Child Loop BB3_1031 Depth 3
                                        ;       Child Loop BB3_1038 Depth 3
	;; [unrolled: 1-line block ×11, first 2 shown]
	v_cmp_lt_u64_e64 s[4:5], s[16:17], 56
	s_and_b64 s[4:5], s[4:5], exec
	v_cmp_gt_u64_e64 s[4:5], s[16:17], 7
	s_cselect_b32 s19, s17, 0
	s_cselect_b32 s18, s16, 56
	s_and_b64 vcc, exec, s[4:5]
	s_cbranch_vccnz .LBB3_1033
; %bb.1029:                             ;   in Loop: Header=BB3_1028 Depth=2
	s_mov_b64 s[4:5], 0
	s_cmp_eq_u64 s[16:17], 0
	s_waitcnt vmcnt(0)
	v_pk_mov_b32 v[4:5], 0, 0
	s_cbranch_scc1 .LBB3_1032
; %bb.1030:                             ;   in Loop: Header=BB3_1028 Depth=2
	s_lshl_b64 s[20:21], s[18:19], 3
	s_mov_b64 s[22:23], 0
	v_pk_mov_b32 v[4:5], 0, 0
	s_mov_b64 s[24:25], s[14:15]
.LBB3_1031:                             ;   Parent Loop BB3_3 Depth=1
                                        ;     Parent Loop BB3_1028 Depth=2
                                        ; =>    This Inner Loop Header: Depth=3
	global_load_ubyte v6, v51, s[24:25]
	s_waitcnt vmcnt(0)
	v_and_b32_e32 v50, 0xffff, v6
	v_lshlrev_b64 v[6:7], s22, v[50:51]
	s_add_u32 s22, s22, 8
	s_addc_u32 s23, s23, 0
	s_add_u32 s24, s24, 1
	s_addc_u32 s25, s25, 0
	v_or_b32_e32 v4, v6, v4
	s_cmp_lg_u32 s20, s22
	v_or_b32_e32 v5, v7, v5
	s_cbranch_scc1 .LBB3_1031
.LBB3_1032:                             ;   in Loop: Header=BB3_1028 Depth=2
	s_mov_b32 s24, 0
	s_andn2_b64 vcc, exec, s[4:5]
	s_mov_b64 s[4:5], s[14:15]
	s_cbranch_vccz .LBB3_1034
	s_branch .LBB3_1035
.LBB3_1033:                             ;   in Loop: Header=BB3_1028 Depth=2
                                        ; implicit-def: $vgpr4_vgpr5
                                        ; implicit-def: $sgpr24
	s_mov_b64 s[4:5], s[14:15]
.LBB3_1034:                             ;   in Loop: Header=BB3_1028 Depth=2
	global_load_dwordx2 v[4:5], v51, s[14:15]
	s_add_i32 s24, s18, -8
	s_add_u32 s4, s14, 8
	s_addc_u32 s5, s15, 0
.LBB3_1035:                             ;   in Loop: Header=BB3_1028 Depth=2
	s_cmp_gt_u32 s24, 7
	s_cbranch_scc1 .LBB3_1039
; %bb.1036:                             ;   in Loop: Header=BB3_1028 Depth=2
	s_cmp_eq_u32 s24, 0
	s_cbranch_scc1 .LBB3_1040
; %bb.1037:                             ;   in Loop: Header=BB3_1028 Depth=2
	s_mov_b64 s[20:21], 0
	v_pk_mov_b32 v[6:7], 0, 0
	s_mov_b64 s[22:23], 0
.LBB3_1038:                             ;   Parent Loop BB3_3 Depth=1
                                        ;     Parent Loop BB3_1028 Depth=2
                                        ; =>    This Inner Loop Header: Depth=3
	s_add_u32 vcc_lo, s4, s22
	s_addc_u32 vcc_hi, s5, s23
	global_load_ubyte v8, v51, vcc
	s_add_u32 s22, s22, 1
	s_addc_u32 s23, s23, 0
	s_waitcnt vmcnt(0)
	v_and_b32_e32 v50, 0xffff, v8
	v_lshlrev_b64 v[8:9], s20, v[50:51]
	s_add_u32 s20, s20, 8
	s_addc_u32 s21, s21, 0
	v_or_b32_e32 v6, v8, v6
	s_cmp_lg_u32 s24, s22
	v_or_b32_e32 v7, v9, v7
	s_cbranch_scc1 .LBB3_1038
	s_branch .LBB3_1041
.LBB3_1039:                             ;   in Loop: Header=BB3_1028 Depth=2
                                        ; implicit-def: $vgpr6_vgpr7
                                        ; implicit-def: $sgpr25
	s_branch .LBB3_1042
.LBB3_1040:                             ;   in Loop: Header=BB3_1028 Depth=2
	v_pk_mov_b32 v[6:7], 0, 0
.LBB3_1041:                             ;   in Loop: Header=BB3_1028 Depth=2
	s_mov_b32 s25, 0
	s_cbranch_execnz .LBB3_1043
.LBB3_1042:                             ;   in Loop: Header=BB3_1028 Depth=2
	global_load_dwordx2 v[6:7], v51, s[4:5]
	s_add_i32 s25, s24, -8
	s_add_u32 s4, s4, 8
	s_addc_u32 s5, s5, 0
.LBB3_1043:                             ;   in Loop: Header=BB3_1028 Depth=2
	s_cmp_gt_u32 s25, 7
	s_cbranch_scc1 .LBB3_1047
; %bb.1044:                             ;   in Loop: Header=BB3_1028 Depth=2
	s_cmp_eq_u32 s25, 0
	s_cbranch_scc1 .LBB3_1048
; %bb.1045:                             ;   in Loop: Header=BB3_1028 Depth=2
	s_mov_b64 s[20:21], 0
	v_pk_mov_b32 v[8:9], 0, 0
	s_mov_b64 s[22:23], 0
.LBB3_1046:                             ;   Parent Loop BB3_3 Depth=1
                                        ;     Parent Loop BB3_1028 Depth=2
                                        ; =>    This Inner Loop Header: Depth=3
	s_add_u32 vcc_lo, s4, s22
	s_addc_u32 vcc_hi, s5, s23
	global_load_ubyte v10, v51, vcc
	s_add_u32 s22, s22, 1
	s_addc_u32 s23, s23, 0
	s_waitcnt vmcnt(0)
	v_and_b32_e32 v50, 0xffff, v10
	v_lshlrev_b64 v[10:11], s20, v[50:51]
	s_add_u32 s20, s20, 8
	s_addc_u32 s21, s21, 0
	v_or_b32_e32 v8, v10, v8
	s_cmp_lg_u32 s25, s22
	v_or_b32_e32 v9, v11, v9
	s_cbranch_scc1 .LBB3_1046
	s_branch .LBB3_1049
.LBB3_1047:                             ;   in Loop: Header=BB3_1028 Depth=2
                                        ; implicit-def: $sgpr24
	s_branch .LBB3_1050
.LBB3_1048:                             ;   in Loop: Header=BB3_1028 Depth=2
	v_pk_mov_b32 v[8:9], 0, 0
.LBB3_1049:                             ;   in Loop: Header=BB3_1028 Depth=2
	s_mov_b32 s24, 0
	s_cbranch_execnz .LBB3_1051
.LBB3_1050:                             ;   in Loop: Header=BB3_1028 Depth=2
	global_load_dwordx2 v[8:9], v51, s[4:5]
	s_add_i32 s24, s25, -8
	s_add_u32 s4, s4, 8
	s_addc_u32 s5, s5, 0
.LBB3_1051:                             ;   in Loop: Header=BB3_1028 Depth=2
	s_cmp_gt_u32 s24, 7
	s_cbranch_scc1 .LBB3_1055
; %bb.1052:                             ;   in Loop: Header=BB3_1028 Depth=2
	s_cmp_eq_u32 s24, 0
	s_cbranch_scc1 .LBB3_1056
; %bb.1053:                             ;   in Loop: Header=BB3_1028 Depth=2
	s_mov_b64 s[20:21], 0
	v_pk_mov_b32 v[10:11], 0, 0
	s_mov_b64 s[22:23], 0
.LBB3_1054:                             ;   Parent Loop BB3_3 Depth=1
                                        ;     Parent Loop BB3_1028 Depth=2
                                        ; =>    This Inner Loop Header: Depth=3
	s_add_u32 vcc_lo, s4, s22
	s_addc_u32 vcc_hi, s5, s23
	global_load_ubyte v12, v51, vcc
	s_add_u32 s22, s22, 1
	s_addc_u32 s23, s23, 0
	s_waitcnt vmcnt(0)
	v_and_b32_e32 v50, 0xffff, v12
	v_lshlrev_b64 v[12:13], s20, v[50:51]
	s_add_u32 s20, s20, 8
	s_addc_u32 s21, s21, 0
	v_or_b32_e32 v10, v12, v10
	s_cmp_lg_u32 s24, s22
	v_or_b32_e32 v11, v13, v11
	s_cbranch_scc1 .LBB3_1054
	s_branch .LBB3_1057
.LBB3_1055:                             ;   in Loop: Header=BB3_1028 Depth=2
                                        ; implicit-def: $vgpr10_vgpr11
                                        ; implicit-def: $sgpr25
	s_branch .LBB3_1058
.LBB3_1056:                             ;   in Loop: Header=BB3_1028 Depth=2
	v_pk_mov_b32 v[10:11], 0, 0
.LBB3_1057:                             ;   in Loop: Header=BB3_1028 Depth=2
	s_mov_b32 s25, 0
	s_cbranch_execnz .LBB3_1059
.LBB3_1058:                             ;   in Loop: Header=BB3_1028 Depth=2
	global_load_dwordx2 v[10:11], v51, s[4:5]
	s_add_i32 s25, s24, -8
	s_add_u32 s4, s4, 8
	s_addc_u32 s5, s5, 0
.LBB3_1059:                             ;   in Loop: Header=BB3_1028 Depth=2
	s_cmp_gt_u32 s25, 7
	s_cbranch_scc1 .LBB3_1063
; %bb.1060:                             ;   in Loop: Header=BB3_1028 Depth=2
	s_cmp_eq_u32 s25, 0
	s_cbranch_scc1 .LBB3_1064
; %bb.1061:                             ;   in Loop: Header=BB3_1028 Depth=2
	s_mov_b64 s[20:21], 0
	v_pk_mov_b32 v[12:13], 0, 0
	s_mov_b64 s[22:23], 0
.LBB3_1062:                             ;   Parent Loop BB3_3 Depth=1
                                        ;     Parent Loop BB3_1028 Depth=2
                                        ; =>    This Inner Loop Header: Depth=3
	s_add_u32 vcc_lo, s4, s22
	s_addc_u32 vcc_hi, s5, s23
	global_load_ubyte v14, v51, vcc
	s_add_u32 s22, s22, 1
	s_addc_u32 s23, s23, 0
	s_waitcnt vmcnt(0)
	v_and_b32_e32 v50, 0xffff, v14
	v_lshlrev_b64 v[14:15], s20, v[50:51]
	s_add_u32 s20, s20, 8
	s_addc_u32 s21, s21, 0
	v_or_b32_e32 v12, v14, v12
	s_cmp_lg_u32 s25, s22
	v_or_b32_e32 v13, v15, v13
	s_cbranch_scc1 .LBB3_1062
	s_branch .LBB3_1065
.LBB3_1063:                             ;   in Loop: Header=BB3_1028 Depth=2
                                        ; implicit-def: $sgpr24
	s_branch .LBB3_1066
.LBB3_1064:                             ;   in Loop: Header=BB3_1028 Depth=2
	v_pk_mov_b32 v[12:13], 0, 0
.LBB3_1065:                             ;   in Loop: Header=BB3_1028 Depth=2
	s_mov_b32 s24, 0
	s_cbranch_execnz .LBB3_1067
.LBB3_1066:                             ;   in Loop: Header=BB3_1028 Depth=2
	global_load_dwordx2 v[12:13], v51, s[4:5]
	s_add_i32 s24, s25, -8
	s_add_u32 s4, s4, 8
	s_addc_u32 s5, s5, 0
.LBB3_1067:                             ;   in Loop: Header=BB3_1028 Depth=2
	s_cmp_gt_u32 s24, 7
	s_cbranch_scc1 .LBB3_1071
; %bb.1068:                             ;   in Loop: Header=BB3_1028 Depth=2
	s_cmp_eq_u32 s24, 0
	s_cbranch_scc1 .LBB3_1072
; %bb.1069:                             ;   in Loop: Header=BB3_1028 Depth=2
	s_mov_b64 s[20:21], 0
	v_pk_mov_b32 v[14:15], 0, 0
	s_mov_b64 s[22:23], 0
.LBB3_1070:                             ;   Parent Loop BB3_3 Depth=1
                                        ;     Parent Loop BB3_1028 Depth=2
                                        ; =>    This Inner Loop Header: Depth=3
	s_add_u32 vcc_lo, s4, s22
	s_addc_u32 vcc_hi, s5, s23
	global_load_ubyte v16, v51, vcc
	s_add_u32 s22, s22, 1
	s_addc_u32 s23, s23, 0
	s_waitcnt vmcnt(0)
	v_and_b32_e32 v50, 0xffff, v16
	v_lshlrev_b64 v[16:17], s20, v[50:51]
	s_add_u32 s20, s20, 8
	s_addc_u32 s21, s21, 0
	v_or_b32_e32 v14, v16, v14
	s_cmp_lg_u32 s24, s22
	v_or_b32_e32 v15, v17, v15
	s_cbranch_scc1 .LBB3_1070
	s_branch .LBB3_1073
.LBB3_1071:                             ;   in Loop: Header=BB3_1028 Depth=2
                                        ; implicit-def: $vgpr14_vgpr15
                                        ; implicit-def: $sgpr25
	s_branch .LBB3_1074
.LBB3_1072:                             ;   in Loop: Header=BB3_1028 Depth=2
	v_pk_mov_b32 v[14:15], 0, 0
.LBB3_1073:                             ;   in Loop: Header=BB3_1028 Depth=2
	s_mov_b32 s25, 0
	s_cbranch_execnz .LBB3_1075
.LBB3_1074:                             ;   in Loop: Header=BB3_1028 Depth=2
	global_load_dwordx2 v[14:15], v51, s[4:5]
	s_add_i32 s25, s24, -8
	s_add_u32 s4, s4, 8
	s_addc_u32 s5, s5, 0
.LBB3_1075:                             ;   in Loop: Header=BB3_1028 Depth=2
	s_cmp_gt_u32 s25, 7
	s_cbranch_scc1 .LBB3_1079
; %bb.1076:                             ;   in Loop: Header=BB3_1028 Depth=2
	s_cmp_eq_u32 s25, 0
	s_cbranch_scc1 .LBB3_1080
; %bb.1077:                             ;   in Loop: Header=BB3_1028 Depth=2
	s_mov_b64 s[20:21], 0
	v_pk_mov_b32 v[16:17], 0, 0
	s_mov_b64 s[22:23], s[4:5]
.LBB3_1078:                             ;   Parent Loop BB3_3 Depth=1
                                        ;     Parent Loop BB3_1028 Depth=2
                                        ; =>    This Inner Loop Header: Depth=3
	global_load_ubyte v18, v51, s[22:23]
	s_add_i32 s25, s25, -1
	s_waitcnt vmcnt(0)
	v_and_b32_e32 v50, 0xffff, v18
	v_lshlrev_b64 v[18:19], s20, v[50:51]
	s_add_u32 s20, s20, 8
	s_addc_u32 s21, s21, 0
	s_add_u32 s22, s22, 1
	s_addc_u32 s23, s23, 0
	v_or_b32_e32 v16, v18, v16
	s_cmp_lg_u32 s25, 0
	v_or_b32_e32 v17, v19, v17
	s_cbranch_scc1 .LBB3_1078
	s_branch .LBB3_1081
.LBB3_1079:                             ;   in Loop: Header=BB3_1028 Depth=2
	s_branch .LBB3_1082
.LBB3_1080:                             ;   in Loop: Header=BB3_1028 Depth=2
	v_pk_mov_b32 v[16:17], 0, 0
.LBB3_1081:                             ;   in Loop: Header=BB3_1028 Depth=2
	s_cbranch_execnz .LBB3_1083
.LBB3_1082:                             ;   in Loop: Header=BB3_1028 Depth=2
	global_load_dwordx2 v[16:17], v51, s[4:5]
.LBB3_1083:                             ;   in Loop: Header=BB3_1028 Depth=2
	v_readfirstlane_b32 s4, v57
	v_cmp_eq_u32_e64 s[4:5], s4, v57
	v_pk_mov_b32 v[24:25], 0, 0
	s_and_saveexec_b64 s[20:21], s[4:5]
	s_cbranch_execz .LBB3_1089
; %bb.1084:                             ;   in Loop: Header=BB3_1028 Depth=2
	global_load_dwordx2 v[20:21], v51, s[12:13] offset:24 glc
	s_waitcnt vmcnt(0)
	buffer_invl2
	buffer_wbinvl1_vol
	global_load_dwordx2 v[18:19], v51, s[12:13] offset:40
	global_load_dwordx2 v[24:25], v51, s[12:13]
	s_waitcnt vmcnt(1)
	v_and_b32_e32 v18, v18, v20
	v_and_b32_e32 v19, v19, v21
	v_mul_lo_u32 v19, v19, 24
	v_mul_hi_u32 v29, v18, 24
	v_mul_lo_u32 v18, v18, 24
	v_add_u32_e32 v19, v29, v19
	s_waitcnt vmcnt(0)
	v_add_co_u32_e32 v18, vcc, v24, v18
	v_addc_co_u32_e32 v19, vcc, v25, v19, vcc
	global_load_dwordx2 v[18:19], v[18:19], off glc
	s_waitcnt vmcnt(0)
	global_atomic_cmpswap_x2 v[24:25], v51, v[18:21], s[12:13] offset:24 glc
	s_waitcnt vmcnt(0)
	buffer_invl2
	buffer_wbinvl1_vol
	v_cmp_ne_u64_e32 vcc, v[24:25], v[20:21]
	s_and_saveexec_b64 s[22:23], vcc
	s_cbranch_execz .LBB3_1088
; %bb.1085:                             ;   in Loop: Header=BB3_1028 Depth=2
	s_mov_b64 s[24:25], 0
.LBB3_1086:                             ;   Parent Loop BB3_3 Depth=1
                                        ;     Parent Loop BB3_1028 Depth=2
                                        ; =>    This Inner Loop Header: Depth=3
	s_sleep 1
	global_load_dwordx2 v[18:19], v51, s[12:13] offset:40
	global_load_dwordx2 v[30:31], v51, s[12:13]
	v_pk_mov_b32 v[20:21], v[24:25], v[24:25] op_sel:[0,1]
	s_waitcnt vmcnt(1)
	v_and_b32_e32 v18, v18, v20
	v_and_b32_e32 v25, v19, v21
	s_waitcnt vmcnt(0)
	v_mad_u64_u32 v[18:19], vcc, v18, 24, v[30:31]
	v_mov_b32_e32 v24, v19
	v_mad_u64_u32 v[24:25], vcc, v25, 24, v[24:25]
	v_mov_b32_e32 v19, v24
	global_load_dwordx2 v[18:19], v[18:19], off glc
	s_waitcnt vmcnt(0)
	global_atomic_cmpswap_x2 v[24:25], v51, v[18:21], s[12:13] offset:24 glc
	s_waitcnt vmcnt(0)
	buffer_invl2
	buffer_wbinvl1_vol
	v_cmp_eq_u64_e32 vcc, v[24:25], v[20:21]
	s_or_b64 s[24:25], vcc, s[24:25]
	s_andn2_b64 exec, exec, s[24:25]
	s_cbranch_execnz .LBB3_1086
; %bb.1087:                             ;   in Loop: Header=BB3_1028 Depth=2
	s_or_b64 exec, exec, s[24:25]
.LBB3_1088:                             ;   in Loop: Header=BB3_1028 Depth=2
	s_or_b64 exec, exec, s[22:23]
.LBB3_1089:                             ;   in Loop: Header=BB3_1028 Depth=2
	s_or_b64 exec, exec, s[20:21]
	global_load_dwordx2 v[30:31], v51, s[12:13] offset:40
	global_load_dwordx4 v[18:21], v51, s[12:13]
	v_readfirstlane_b32 s20, v24
	v_readfirstlane_b32 s21, v25
	s_mov_b64 s[22:23], exec
	s_waitcnt vmcnt(1)
	v_readfirstlane_b32 s24, v30
	v_readfirstlane_b32 s25, v31
	s_and_b64 s[24:25], s[20:21], s[24:25]
	s_mul_i32 s29, s25, 24
	s_mul_hi_u32 vcc_lo, s24, 24
	s_mul_i32 vcc_hi, s24, 24
	s_add_i32 s29, vcc_lo, s29
	v_mov_b32_e32 v25, s29
	s_waitcnt vmcnt(0)
	v_add_co_u32_e32 v24, vcc, vcc_hi, v18
	v_addc_co_u32_e32 v25, vcc, v19, v25, vcc
	s_and_saveexec_b64 vcc, s[4:5]
	s_cbranch_execz .LBB3_1091
; %bb.1090:                             ;   in Loop: Header=BB3_1028 Depth=2
	v_pk_mov_b32 v[40:41], s[22:23], s[22:23] op_sel:[0,1]
	global_store_dwordx4 v[24:25], v[40:43], off offset:8
.LBB3_1091:                             ;   in Loop: Header=BB3_1028 Depth=2
	s_or_b64 exec, exec, vcc
	s_lshl_b64 s[22:23], s[24:25], 12
	v_mov_b32_e32 v29, s23
	v_add_co_u32_e32 v20, vcc, s22, v20
	v_addc_co_u32_e32 v21, vcc, v21, v29, vcc
	v_or_b32_e32 v30, v2, v22
	v_cmp_gt_u64_e64 vcc, s[16:17], 56
	s_lshl_b32 s22, s18, 2
	v_cndmask_b32_e32 v2, v30, v2, vcc
	s_add_i32 s22, s22, 28
	v_or_b32_e32 v29, 0, v3
	s_and_b32 s22, s22, 0x1e0
	v_and_b32_e32 v2, 0xffffff1f, v2
	v_cndmask_b32_e32 v3, v29, v3, vcc
	v_or_b32_e32 v2, s22, v2
	v_readfirstlane_b32 s22, v20
	v_readfirstlane_b32 s23, v21
	s_nop 4
	global_store_dwordx4 v27, v[2:5], s[22:23]
	global_store_dwordx4 v27, v[6:9], s[22:23] offset:16
	global_store_dwordx4 v27, v[10:13], s[22:23] offset:32
	global_store_dwordx4 v27, v[14:17], s[22:23] offset:48
	s_and_saveexec_b64 s[22:23], s[4:5]
	s_cbranch_execz .LBB3_1099
; %bb.1092:                             ;   in Loop: Header=BB3_1028 Depth=2
	global_load_dwordx2 v[10:11], v51, s[12:13] offset:32 glc
	global_load_dwordx2 v[2:3], v51, s[12:13] offset:40
	v_mov_b32_e32 v8, s20
	v_mov_b32_e32 v9, s21
	s_waitcnt vmcnt(0)
	v_readfirstlane_b32 s24, v2
	v_readfirstlane_b32 s25, v3
	s_and_b64 s[24:25], s[24:25], s[20:21]
	s_mul_i32 s25, s25, 24
	s_mul_hi_u32 s29, s24, 24
	s_mul_i32 s24, s24, 24
	s_add_i32 s25, s29, s25
	v_mov_b32_e32 v2, s25
	v_add_co_u32_e32 v6, vcc, s24, v18
	v_addc_co_u32_e32 v7, vcc, v19, v2, vcc
	global_store_dwordx2 v[6:7], v[10:11], off
	buffer_wbl2
	s_waitcnt vmcnt(0)
	global_atomic_cmpswap_x2 v[4:5], v51, v[8:11], s[12:13] offset:32 glc
	s_waitcnt vmcnt(0)
	v_cmp_ne_u64_e32 vcc, v[4:5], v[10:11]
	s_and_saveexec_b64 s[24:25], vcc
	s_cbranch_execz .LBB3_1095
; %bb.1093:                             ;   in Loop: Header=BB3_1028 Depth=2
	s_mov_b64 s[30:31], 0
.LBB3_1094:                             ;   Parent Loop BB3_3 Depth=1
                                        ;     Parent Loop BB3_1028 Depth=2
                                        ; =>    This Inner Loop Header: Depth=3
	s_sleep 1
	global_store_dwordx2 v[6:7], v[4:5], off
	v_mov_b32_e32 v2, s20
	v_mov_b32_e32 v3, s21
	buffer_wbl2
	s_waitcnt vmcnt(0)
	global_atomic_cmpswap_x2 v[2:3], v51, v[2:5], s[12:13] offset:32 glc
	s_waitcnt vmcnt(0)
	v_cmp_eq_u64_e32 vcc, v[2:3], v[4:5]
	s_or_b64 s[30:31], vcc, s[30:31]
	v_pk_mov_b32 v[4:5], v[2:3], v[2:3] op_sel:[0,1]
	s_andn2_b64 exec, exec, s[30:31]
	s_cbranch_execnz .LBB3_1094
.LBB3_1095:                             ;   in Loop: Header=BB3_1028 Depth=2
	s_or_b64 exec, exec, s[24:25]
	global_load_dwordx2 v[2:3], v51, s[12:13] offset:16
	s_mov_b64 s[30:31], exec
	v_mbcnt_lo_u32_b32 v4, s30, 0
	v_mbcnt_hi_u32_b32 v4, s31, v4
	v_cmp_eq_u32_e32 vcc, 0, v4
	s_and_saveexec_b64 s[24:25], vcc
	s_cbranch_execz .LBB3_1097
; %bb.1096:                             ;   in Loop: Header=BB3_1028 Depth=2
	s_bcnt1_i32_b64 s29, s[30:31]
	v_mov_b32_e32 v50, s29
	buffer_wbl2
	s_waitcnt vmcnt(0)
	global_atomic_add_x2 v[2:3], v[50:51], off offset:8
.LBB3_1097:                             ;   in Loop: Header=BB3_1028 Depth=2
	s_or_b64 exec, exec, s[24:25]
	s_waitcnt vmcnt(0)
	global_load_dwordx2 v[4:5], v[2:3], off offset:16
	s_waitcnt vmcnt(0)
	v_cmp_eq_u64_e32 vcc, 0, v[4:5]
	s_cbranch_vccnz .LBB3_1099
; %bb.1098:                             ;   in Loop: Header=BB3_1028 Depth=2
	global_load_dword v50, v[2:3], off offset:24
	s_waitcnt vmcnt(0)
	v_and_b32_e32 v2, 0xffffff, v50
	v_readfirstlane_b32 m0, v2
	buffer_wbl2
	global_store_dwordx2 v[4:5], v[50:51], off
	s_sendmsg sendmsg(MSG_INTERRUPT)
.LBB3_1099:                             ;   in Loop: Header=BB3_1028 Depth=2
	s_or_b64 exec, exec, s[22:23]
	v_add_co_u32_e32 v2, vcc, v20, v27
	v_addc_co_u32_e32 v3, vcc, 0, v21, vcc
	s_branch .LBB3_1103
.LBB3_1100:                             ;   in Loop: Header=BB3_1103 Depth=3
	s_or_b64 exec, exec, s[22:23]
	v_readfirstlane_b32 s22, v4
	s_cmp_eq_u32 s22, 0
	s_cbranch_scc1 .LBB3_1102
; %bb.1101:                             ;   in Loop: Header=BB3_1103 Depth=3
	s_sleep 1
	s_cbranch_execnz .LBB3_1103
	s_branch .LBB3_1105
.LBB3_1102:                             ;   in Loop: Header=BB3_1028 Depth=2
	s_branch .LBB3_1105
.LBB3_1103:                             ;   Parent Loop BB3_3 Depth=1
                                        ;     Parent Loop BB3_1028 Depth=2
                                        ; =>    This Inner Loop Header: Depth=3
	v_mov_b32_e32 v4, 1
	s_and_saveexec_b64 s[22:23], s[4:5]
	s_cbranch_execz .LBB3_1100
; %bb.1104:                             ;   in Loop: Header=BB3_1103 Depth=3
	global_load_dword v4, v[24:25], off offset:20 glc
	s_waitcnt vmcnt(0)
	buffer_invl2
	buffer_wbinvl1_vol
	v_and_b32_e32 v4, 1, v4
	s_branch .LBB3_1100
.LBB3_1105:                             ;   in Loop: Header=BB3_1028 Depth=2
	global_load_dwordx4 v[2:5], v[2:3], off
	s_and_saveexec_b64 s[22:23], s[4:5]
	s_cbranch_execz .LBB3_1027
; %bb.1106:                             ;   in Loop: Header=BB3_1028 Depth=2
	global_load_dwordx2 v[8:9], v51, s[12:13] offset:40
	global_load_dwordx2 v[10:11], v51, s[12:13] offset:24 glc
	global_load_dwordx2 v[12:13], v51, s[12:13]
	s_waitcnt vmcnt(3)
	v_mov_b32_e32 v5, s21
	s_waitcnt vmcnt(2)
	v_add_co_u32_e32 v7, vcc, 1, v8
	v_addc_co_u32_e32 v14, vcc, 0, v9, vcc
	v_add_co_u32_e32 v4, vcc, s20, v7
	v_addc_co_u32_e32 v5, vcc, v14, v5, vcc
	v_cmp_eq_u64_e32 vcc, 0, v[4:5]
	v_cndmask_b32_e32 v5, v5, v14, vcc
	v_cndmask_b32_e32 v4, v4, v7, vcc
	v_and_b32_e32 v7, v5, v9
	v_and_b32_e32 v8, v4, v8
	v_mul_lo_u32 v7, v7, 24
	v_mul_hi_u32 v9, v8, 24
	v_mul_lo_u32 v8, v8, 24
	v_add_u32_e32 v7, v9, v7
	s_waitcnt vmcnt(0)
	v_add_co_u32_e32 v8, vcc, v12, v8
	v_addc_co_u32_e32 v9, vcc, v13, v7, vcc
	v_mov_b32_e32 v6, v10
	global_store_dwordx2 v[8:9], v[10:11], off
	v_mov_b32_e32 v7, v11
	buffer_wbl2
	s_waitcnt vmcnt(0)
	global_atomic_cmpswap_x2 v[6:7], v51, v[4:7], s[12:13] offset:24 glc
	s_waitcnt vmcnt(0)
	v_cmp_ne_u64_e32 vcc, v[6:7], v[10:11]
	s_and_b64 exec, exec, vcc
	s_cbranch_execz .LBB3_1027
; %bb.1107:                             ;   in Loop: Header=BB3_1028 Depth=2
	s_mov_b64 s[4:5], 0
.LBB3_1108:                             ;   Parent Loop BB3_3 Depth=1
                                        ;     Parent Loop BB3_1028 Depth=2
                                        ; =>    This Inner Loop Header: Depth=3
	s_sleep 1
	global_store_dwordx2 v[8:9], v[6:7], off
	buffer_wbl2
	s_waitcnt vmcnt(0)
	global_atomic_cmpswap_x2 v[10:11], v51, v[4:7], s[12:13] offset:24 glc
	s_waitcnt vmcnt(0)
	v_cmp_eq_u64_e32 vcc, v[10:11], v[6:7]
	s_or_b64 s[4:5], vcc, s[4:5]
	v_pk_mov_b32 v[6:7], v[10:11], v[10:11] op_sel:[0,1]
	s_andn2_b64 exec, exec, s[4:5]
	s_cbranch_execnz .LBB3_1108
	s_branch .LBB3_1027
.LBB3_1109:                             ;   in Loop: Header=BB3_3 Depth=1
	s_branch .LBB3_1139
.LBB3_1110:                             ;   in Loop: Header=BB3_3 Depth=1
	s_branch .LBB3_1246
.LBB3_1111:                             ;   in Loop: Header=BB3_3 Depth=1
                                        ; implicit-def: $vgpr2_vgpr3
	s_cbranch_execz .LBB3_1139
; %bb.1112:                             ;   in Loop: Header=BB3_3 Depth=1
	v_readfirstlane_b32 s4, v57
	v_cmp_eq_u32_e64 s[4:5], s4, v57
	s_waitcnt vmcnt(0)
	v_pk_mov_b32 v[2:3], 0, 0
	s_and_saveexec_b64 s[14:15], s[4:5]
	s_cbranch_execz .LBB3_1118
; %bb.1113:                             ;   in Loop: Header=BB3_3 Depth=1
	global_load_dwordx2 v[4:5], v51, s[12:13] offset:24 glc
	s_waitcnt vmcnt(0)
	buffer_invl2
	buffer_wbinvl1_vol
	global_load_dwordx2 v[2:3], v51, s[12:13] offset:40
	global_load_dwordx2 v[6:7], v51, s[12:13]
	s_waitcnt vmcnt(1)
	v_and_b32_e32 v2, v2, v4
	v_and_b32_e32 v3, v3, v5
	v_mul_lo_u32 v3, v3, 24
	v_mul_hi_u32 v8, v2, 24
	v_mul_lo_u32 v2, v2, 24
	v_add_u32_e32 v3, v8, v3
	s_waitcnt vmcnt(0)
	v_add_co_u32_e32 v2, vcc, v6, v2
	v_addc_co_u32_e32 v3, vcc, v7, v3, vcc
	global_load_dwordx2 v[2:3], v[2:3], off glc
	s_waitcnt vmcnt(0)
	global_atomic_cmpswap_x2 v[2:3], v51, v[2:5], s[12:13] offset:24 glc
	s_waitcnt vmcnt(0)
	buffer_invl2
	buffer_wbinvl1_vol
	v_cmp_ne_u64_e32 vcc, v[2:3], v[4:5]
	s_and_saveexec_b64 s[16:17], vcc
	s_cbranch_execz .LBB3_1117
; %bb.1114:                             ;   in Loop: Header=BB3_3 Depth=1
	s_mov_b64 s[18:19], 0
.LBB3_1115:                             ;   Parent Loop BB3_3 Depth=1
                                        ; =>  This Inner Loop Header: Depth=2
	s_sleep 1
	global_load_dwordx2 v[6:7], v51, s[12:13] offset:40
	global_load_dwordx2 v[8:9], v51, s[12:13]
	v_pk_mov_b32 v[4:5], v[2:3], v[2:3] op_sel:[0,1]
	s_waitcnt vmcnt(1)
	v_and_b32_e32 v2, v6, v4
	s_waitcnt vmcnt(0)
	v_mad_u64_u32 v[2:3], s[20:21], v2, 24, v[8:9]
	v_and_b32_e32 v7, v7, v5
	v_mov_b32_e32 v6, v3
	v_mad_u64_u32 v[6:7], s[20:21], v7, 24, v[6:7]
	v_mov_b32_e32 v3, v6
	global_load_dwordx2 v[2:3], v[2:3], off glc
	s_waitcnt vmcnt(0)
	global_atomic_cmpswap_x2 v[2:3], v51, v[2:5], s[12:13] offset:24 glc
	s_waitcnt vmcnt(0)
	buffer_invl2
	buffer_wbinvl1_vol
	v_cmp_eq_u64_e32 vcc, v[2:3], v[4:5]
	s_or_b64 s[18:19], vcc, s[18:19]
	s_andn2_b64 exec, exec, s[18:19]
	s_cbranch_execnz .LBB3_1115
; %bb.1116:                             ;   in Loop: Header=BB3_3 Depth=1
	s_or_b64 exec, exec, s[18:19]
.LBB3_1117:                             ;   in Loop: Header=BB3_3 Depth=1
	s_or_b64 exec, exec, s[16:17]
.LBB3_1118:                             ;   in Loop: Header=BB3_3 Depth=1
	s_or_b64 exec, exec, s[14:15]
	global_load_dwordx2 v[8:9], v51, s[12:13] offset:40
	global_load_dwordx4 v[4:7], v51, s[12:13]
	v_readfirstlane_b32 s14, v2
	v_readfirstlane_b32 s15, v3
	s_mov_b64 s[16:17], exec
	s_waitcnt vmcnt(1)
	v_readfirstlane_b32 s18, v8
	v_readfirstlane_b32 s19, v9
	s_and_b64 s[18:19], s[14:15], s[18:19]
	s_mul_i32 s20, s19, 24
	s_mul_hi_u32 s21, s18, 24
	s_mul_i32 s22, s18, 24
	s_add_i32 s20, s21, s20
	v_mov_b32_e32 v2, s20
	s_waitcnt vmcnt(0)
	v_add_co_u32_e32 v8, vcc, s22, v4
	v_addc_co_u32_e32 v9, vcc, v5, v2, vcc
	s_and_saveexec_b64 s[20:21], s[4:5]
	s_cbranch_execz .LBB3_1120
; %bb.1119:                             ;   in Loop: Header=BB3_3 Depth=1
	v_pk_mov_b32 v[40:41], s[16:17], s[16:17] op_sel:[0,1]
	global_store_dwordx4 v[8:9], v[40:43], off offset:8
.LBB3_1120:                             ;   in Loop: Header=BB3_3 Depth=1
	s_or_b64 exec, exec, s[20:21]
	s_lshl_b64 s[16:17], s[18:19], 12
	v_mov_b32_e32 v2, s17
	v_add_co_u32_e32 v6, vcc, s16, v6
	v_addc_co_u32_e32 v7, vcc, v7, v2, vcc
	v_and_or_b32 v0, v0, s71, 32
	v_mov_b32_e32 v2, v51
	v_mov_b32_e32 v3, v51
	v_readfirstlane_b32 s16, v6
	v_readfirstlane_b32 s17, v7
	s_mov_b32 s29, s28
	s_mov_b32 s30, s28
	;; [unrolled: 1-line block ×3, first 2 shown]
	s_nop 1
	global_store_dwordx4 v27, v[0:3], s[16:17]
	s_nop 0
	v_pk_mov_b32 v[0:1], s[28:29], s[28:29] op_sel:[0,1]
	v_pk_mov_b32 v[2:3], s[30:31], s[30:31] op_sel:[0,1]
	global_store_dwordx4 v27, v[0:3], s[16:17] offset:16
	global_store_dwordx4 v27, v[0:3], s[16:17] offset:32
	;; [unrolled: 1-line block ×3, first 2 shown]
	s_and_saveexec_b64 s[16:17], s[4:5]
	s_cbranch_execz .LBB3_1128
; %bb.1121:                             ;   in Loop: Header=BB3_3 Depth=1
	global_load_dwordx2 v[12:13], v51, s[12:13] offset:32 glc
	global_load_dwordx2 v[0:1], v51, s[12:13] offset:40
	v_mov_b32_e32 v10, s14
	v_mov_b32_e32 v11, s15
	s_waitcnt vmcnt(0)
	v_readfirstlane_b32 s18, v0
	v_readfirstlane_b32 s19, v1
	s_and_b64 s[18:19], s[18:19], s[14:15]
	s_mul_i32 s19, s19, 24
	s_mul_hi_u32 s20, s18, 24
	s_mul_i32 s18, s18, 24
	s_add_i32 s19, s20, s19
	v_mov_b32_e32 v0, s19
	v_add_co_u32_e32 v4, vcc, s18, v4
	v_addc_co_u32_e32 v5, vcc, v5, v0, vcc
	global_store_dwordx2 v[4:5], v[12:13], off
	buffer_wbl2
	s_waitcnt vmcnt(0)
	global_atomic_cmpswap_x2 v[2:3], v51, v[10:13], s[12:13] offset:32 glc
	s_waitcnt vmcnt(0)
	v_cmp_ne_u64_e32 vcc, v[2:3], v[12:13]
	s_and_saveexec_b64 s[18:19], vcc
	s_cbranch_execz .LBB3_1124
; %bb.1122:                             ;   in Loop: Header=BB3_3 Depth=1
	s_mov_b64 s[20:21], 0
.LBB3_1123:                             ;   Parent Loop BB3_3 Depth=1
                                        ; =>  This Inner Loop Header: Depth=2
	s_sleep 1
	global_store_dwordx2 v[4:5], v[2:3], off
	v_mov_b32_e32 v0, s14
	v_mov_b32_e32 v1, s15
	buffer_wbl2
	s_waitcnt vmcnt(0)
	global_atomic_cmpswap_x2 v[0:1], v51, v[0:3], s[12:13] offset:32 glc
	s_waitcnt vmcnt(0)
	v_cmp_eq_u64_e32 vcc, v[0:1], v[2:3]
	s_or_b64 s[20:21], vcc, s[20:21]
	v_pk_mov_b32 v[2:3], v[0:1], v[0:1] op_sel:[0,1]
	s_andn2_b64 exec, exec, s[20:21]
	s_cbranch_execnz .LBB3_1123
.LBB3_1124:                             ;   in Loop: Header=BB3_3 Depth=1
	s_or_b64 exec, exec, s[18:19]
	global_load_dwordx2 v[0:1], v51, s[12:13] offset:16
	s_mov_b64 s[20:21], exec
	v_mbcnt_lo_u32_b32 v2, s20, 0
	v_mbcnt_hi_u32_b32 v2, s21, v2
	v_cmp_eq_u32_e32 vcc, 0, v2
	s_and_saveexec_b64 s[18:19], vcc
	s_cbranch_execz .LBB3_1126
; %bb.1125:                             ;   in Loop: Header=BB3_3 Depth=1
	s_bcnt1_i32_b64 s20, s[20:21]
	v_mov_b32_e32 v50, s20
	buffer_wbl2
	s_waitcnt vmcnt(0)
	global_atomic_add_x2 v[0:1], v[50:51], off offset:8
.LBB3_1126:                             ;   in Loop: Header=BB3_3 Depth=1
	s_or_b64 exec, exec, s[18:19]
	s_waitcnt vmcnt(0)
	global_load_dwordx2 v[2:3], v[0:1], off offset:16
	s_waitcnt vmcnt(0)
	v_cmp_eq_u64_e32 vcc, 0, v[2:3]
	s_cbranch_vccnz .LBB3_1128
; %bb.1127:                             ;   in Loop: Header=BB3_3 Depth=1
	global_load_dword v50, v[0:1], off offset:24
	s_waitcnt vmcnt(0)
	v_and_b32_e32 v0, 0xffffff, v50
	v_readfirstlane_b32 m0, v0
	buffer_wbl2
	global_store_dwordx2 v[2:3], v[50:51], off
	s_sendmsg sendmsg(MSG_INTERRUPT)
.LBB3_1128:                             ;   in Loop: Header=BB3_3 Depth=1
	s_or_b64 exec, exec, s[16:17]
	v_add_co_u32_e32 v0, vcc, v6, v27
	v_addc_co_u32_e32 v1, vcc, 0, v7, vcc
	s_branch .LBB3_1132
.LBB3_1129:                             ;   in Loop: Header=BB3_1132 Depth=2
	s_or_b64 exec, exec, s[16:17]
	v_readfirstlane_b32 s16, v2
	s_cmp_eq_u32 s16, 0
	s_cbranch_scc1 .LBB3_1131
; %bb.1130:                             ;   in Loop: Header=BB3_1132 Depth=2
	s_sleep 1
	s_cbranch_execnz .LBB3_1132
	s_branch .LBB3_1134
.LBB3_1131:                             ;   in Loop: Header=BB3_3 Depth=1
	s_branch .LBB3_1134
.LBB3_1132:                             ;   Parent Loop BB3_3 Depth=1
                                        ; =>  This Inner Loop Header: Depth=2
	v_mov_b32_e32 v2, 1
	s_and_saveexec_b64 s[16:17], s[4:5]
	s_cbranch_execz .LBB3_1129
; %bb.1133:                             ;   in Loop: Header=BB3_1132 Depth=2
	global_load_dword v2, v[8:9], off offset:20 glc
	s_waitcnt vmcnt(0)
	buffer_invl2
	buffer_wbinvl1_vol
	v_and_b32_e32 v2, 1, v2
	s_branch .LBB3_1129
.LBB3_1134:                             ;   in Loop: Header=BB3_3 Depth=1
	global_load_dwordx2 v[2:3], v[0:1], off
	s_and_saveexec_b64 s[16:17], s[4:5]
	s_cbranch_execz .LBB3_1138
; %bb.1135:                             ;   in Loop: Header=BB3_3 Depth=1
	global_load_dwordx2 v[0:1], v51, s[12:13] offset:40
	global_load_dwordx2 v[8:9], v51, s[12:13] offset:24 glc
	global_load_dwordx2 v[10:11], v51, s[12:13]
	v_mov_b32_e32 v5, s15
	s_waitcnt vmcnt(2)
	v_add_co_u32_e32 v7, vcc, 1, v0
	v_addc_co_u32_e32 v12, vcc, 0, v1, vcc
	v_add_co_u32_e32 v4, vcc, s14, v7
	v_addc_co_u32_e32 v5, vcc, v12, v5, vcc
	v_cmp_eq_u64_e32 vcc, 0, v[4:5]
	v_cndmask_b32_e32 v5, v5, v12, vcc
	v_cndmask_b32_e32 v4, v4, v7, vcc
	v_and_b32_e32 v1, v5, v1
	v_and_b32_e32 v0, v4, v0
	v_mul_lo_u32 v1, v1, 24
	v_mul_hi_u32 v7, v0, 24
	v_mul_lo_u32 v0, v0, 24
	v_add_u32_e32 v1, v7, v1
	s_waitcnt vmcnt(0)
	v_add_co_u32_e32 v0, vcc, v10, v0
	v_addc_co_u32_e32 v1, vcc, v11, v1, vcc
	v_mov_b32_e32 v6, v8
	global_store_dwordx2 v[0:1], v[8:9], off
	v_mov_b32_e32 v7, v9
	buffer_wbl2
	s_waitcnt vmcnt(0)
	global_atomic_cmpswap_x2 v[6:7], v51, v[4:7], s[12:13] offset:24 glc
	s_waitcnt vmcnt(0)
	v_cmp_ne_u64_e32 vcc, v[6:7], v[8:9]
	s_and_b64 exec, exec, vcc
	s_cbranch_execz .LBB3_1138
; %bb.1136:                             ;   in Loop: Header=BB3_3 Depth=1
	s_mov_b64 s[4:5], 0
.LBB3_1137:                             ;   Parent Loop BB3_3 Depth=1
                                        ; =>  This Inner Loop Header: Depth=2
	s_sleep 1
	global_store_dwordx2 v[0:1], v[6:7], off
	buffer_wbl2
	s_waitcnt vmcnt(0)
	global_atomic_cmpswap_x2 v[8:9], v51, v[4:7], s[12:13] offset:24 glc
	s_waitcnt vmcnt(0)
	v_cmp_eq_u64_e32 vcc, v[8:9], v[6:7]
	s_or_b64 s[4:5], vcc, s[4:5]
	v_pk_mov_b32 v[6:7], v[8:9], v[8:9] op_sel:[0,1]
	s_andn2_b64 exec, exec, s[4:5]
	s_cbranch_execnz .LBB3_1137
.LBB3_1138:                             ;   in Loop: Header=BB3_3 Depth=1
	s_or_b64 exec, exec, s[16:17]
.LBB3_1139:                             ;   in Loop: Header=BB3_3 Depth=1
	v_readfirstlane_b32 s4, v57
	v_cmp_eq_u32_e64 s[4:5], s4, v57
	s_waitcnt vmcnt(0)
	v_pk_mov_b32 v[0:1], 0, 0
	s_and_saveexec_b64 s[14:15], s[4:5]
	s_cbranch_execz .LBB3_1145
; %bb.1140:                             ;   in Loop: Header=BB3_3 Depth=1
	global_load_dwordx2 v[6:7], v51, s[12:13] offset:24 glc
	s_waitcnt vmcnt(0)
	buffer_invl2
	buffer_wbinvl1_vol
	global_load_dwordx2 v[0:1], v51, s[12:13] offset:40
	global_load_dwordx2 v[4:5], v51, s[12:13]
	s_waitcnt vmcnt(1)
	v_and_b32_e32 v0, v0, v6
	v_and_b32_e32 v1, v1, v7
	v_mul_lo_u32 v1, v1, 24
	v_mul_hi_u32 v8, v0, 24
	v_mul_lo_u32 v0, v0, 24
	v_add_u32_e32 v1, v8, v1
	s_waitcnt vmcnt(0)
	v_add_co_u32_e32 v0, vcc, v4, v0
	v_addc_co_u32_e32 v1, vcc, v5, v1, vcc
	global_load_dwordx2 v[4:5], v[0:1], off glc
	s_waitcnt vmcnt(0)
	global_atomic_cmpswap_x2 v[0:1], v51, v[4:7], s[12:13] offset:24 glc
	s_waitcnt vmcnt(0)
	buffer_invl2
	buffer_wbinvl1_vol
	v_cmp_ne_u64_e32 vcc, v[0:1], v[6:7]
	s_and_saveexec_b64 s[16:17], vcc
	s_cbranch_execz .LBB3_1144
; %bb.1141:                             ;   in Loop: Header=BB3_3 Depth=1
	s_mov_b64 s[18:19], 0
.LBB3_1142:                             ;   Parent Loop BB3_3 Depth=1
                                        ; =>  This Inner Loop Header: Depth=2
	s_sleep 1
	global_load_dwordx2 v[4:5], v51, s[12:13] offset:40
	global_load_dwordx2 v[8:9], v51, s[12:13]
	v_pk_mov_b32 v[6:7], v[0:1], v[0:1] op_sel:[0,1]
	s_waitcnt vmcnt(1)
	v_and_b32_e32 v0, v4, v6
	s_waitcnt vmcnt(0)
	v_mad_u64_u32 v[0:1], s[20:21], v0, 24, v[8:9]
	v_and_b32_e32 v5, v5, v7
	v_mov_b32_e32 v4, v1
	v_mad_u64_u32 v[4:5], s[20:21], v5, 24, v[4:5]
	v_mov_b32_e32 v1, v4
	global_load_dwordx2 v[4:5], v[0:1], off glc
	s_waitcnt vmcnt(0)
	global_atomic_cmpswap_x2 v[0:1], v51, v[4:7], s[12:13] offset:24 glc
	s_waitcnt vmcnt(0)
	buffer_invl2
	buffer_wbinvl1_vol
	v_cmp_eq_u64_e32 vcc, v[0:1], v[6:7]
	s_or_b64 s[18:19], vcc, s[18:19]
	s_andn2_b64 exec, exec, s[18:19]
	s_cbranch_execnz .LBB3_1142
; %bb.1143:                             ;   in Loop: Header=BB3_3 Depth=1
	s_or_b64 exec, exec, s[18:19]
.LBB3_1144:                             ;   in Loop: Header=BB3_3 Depth=1
	s_or_b64 exec, exec, s[16:17]
.LBB3_1145:                             ;   in Loop: Header=BB3_3 Depth=1
	s_or_b64 exec, exec, s[14:15]
	global_load_dwordx2 v[4:5], v51, s[12:13] offset:40
	global_load_dwordx4 v[6:9], v51, s[12:13]
	v_readfirstlane_b32 s14, v0
	v_readfirstlane_b32 s15, v1
	s_mov_b64 s[16:17], exec
	s_waitcnt vmcnt(1)
	v_readfirstlane_b32 s18, v4
	v_readfirstlane_b32 s19, v5
	s_and_b64 s[18:19], s[14:15], s[18:19]
	s_mul_i32 s20, s19, 24
	s_mul_hi_u32 s21, s18, 24
	s_mul_i32 s22, s18, 24
	s_add_i32 s20, s21, s20
	v_mov_b32_e32 v0, s20
	s_waitcnt vmcnt(0)
	v_add_co_u32_e32 v10, vcc, s22, v6
	v_addc_co_u32_e32 v11, vcc, v7, v0, vcc
	s_and_saveexec_b64 s[20:21], s[4:5]
	s_cbranch_execz .LBB3_1147
; %bb.1146:                             ;   in Loop: Header=BB3_3 Depth=1
	v_pk_mov_b32 v[40:41], s[16:17], s[16:17] op_sel:[0,1]
	global_store_dwordx4 v[10:11], v[40:43], off offset:8
.LBB3_1147:                             ;   in Loop: Header=BB3_3 Depth=1
	s_or_b64 exec, exec, s[20:21]
	s_lshl_b64 s[16:17], s[18:19], 12
	v_mov_b32_e32 v0, s17
	v_add_co_u32_e32 v8, vcc, s16, v8
	v_addc_co_u32_e32 v9, vcc, v9, v0, vcc
	v_and_or_b32 v2, v2, s71, 32
	v_mov_b32_e32 v4, v54
	v_mov_b32_e32 v5, v55
	v_readfirstlane_b32 s16, v8
	v_readfirstlane_b32 s17, v9
	s_mov_b32 s29, s28
	s_mov_b32 s30, s28
	;; [unrolled: 1-line block ×3, first 2 shown]
	s_nop 1
	global_store_dwordx4 v27, v[2:5], s[16:17]
	v_pk_mov_b32 v[0:1], s[28:29], s[28:29] op_sel:[0,1]
	v_pk_mov_b32 v[2:3], s[30:31], s[30:31] op_sel:[0,1]
	global_store_dwordx4 v27, v[0:3], s[16:17] offset:16
	global_store_dwordx4 v27, v[0:3], s[16:17] offset:32
	;; [unrolled: 1-line block ×3, first 2 shown]
	s_and_saveexec_b64 s[16:17], s[4:5]
	s_cbranch_execz .LBB3_1155
; %bb.1148:                             ;   in Loop: Header=BB3_3 Depth=1
	global_load_dwordx2 v[14:15], v51, s[12:13] offset:32 glc
	global_load_dwordx2 v[0:1], v51, s[12:13] offset:40
	v_mov_b32_e32 v12, s14
	v_mov_b32_e32 v13, s15
	s_waitcnt vmcnt(0)
	v_readfirstlane_b32 s18, v0
	v_readfirstlane_b32 s19, v1
	s_and_b64 s[18:19], s[18:19], s[14:15]
	s_mul_i32 s19, s19, 24
	s_mul_hi_u32 s20, s18, 24
	s_mul_i32 s18, s18, 24
	s_add_i32 s19, s20, s19
	v_mov_b32_e32 v0, s19
	v_add_co_u32_e32 v4, vcc, s18, v6
	v_addc_co_u32_e32 v5, vcc, v7, v0, vcc
	global_store_dwordx2 v[4:5], v[14:15], off
	buffer_wbl2
	s_waitcnt vmcnt(0)
	global_atomic_cmpswap_x2 v[2:3], v51, v[12:15], s[12:13] offset:32 glc
	s_waitcnt vmcnt(0)
	v_cmp_ne_u64_e32 vcc, v[2:3], v[14:15]
	s_and_saveexec_b64 s[18:19], vcc
	s_cbranch_execz .LBB3_1151
; %bb.1149:                             ;   in Loop: Header=BB3_3 Depth=1
	s_mov_b64 s[20:21], 0
.LBB3_1150:                             ;   Parent Loop BB3_3 Depth=1
                                        ; =>  This Inner Loop Header: Depth=2
	s_sleep 1
	global_store_dwordx2 v[4:5], v[2:3], off
	v_mov_b32_e32 v0, s14
	v_mov_b32_e32 v1, s15
	buffer_wbl2
	s_waitcnt vmcnt(0)
	global_atomic_cmpswap_x2 v[0:1], v51, v[0:3], s[12:13] offset:32 glc
	s_waitcnt vmcnt(0)
	v_cmp_eq_u64_e32 vcc, v[0:1], v[2:3]
	s_or_b64 s[20:21], vcc, s[20:21]
	v_pk_mov_b32 v[2:3], v[0:1], v[0:1] op_sel:[0,1]
	s_andn2_b64 exec, exec, s[20:21]
	s_cbranch_execnz .LBB3_1150
.LBB3_1151:                             ;   in Loop: Header=BB3_3 Depth=1
	s_or_b64 exec, exec, s[18:19]
	global_load_dwordx2 v[0:1], v51, s[12:13] offset:16
	s_mov_b64 s[20:21], exec
	v_mbcnt_lo_u32_b32 v2, s20, 0
	v_mbcnt_hi_u32_b32 v2, s21, v2
	v_cmp_eq_u32_e32 vcc, 0, v2
	s_and_saveexec_b64 s[18:19], vcc
	s_cbranch_execz .LBB3_1153
; %bb.1152:                             ;   in Loop: Header=BB3_3 Depth=1
	s_bcnt1_i32_b64 s20, s[20:21]
	v_mov_b32_e32 v50, s20
	buffer_wbl2
	s_waitcnt vmcnt(0)
	global_atomic_add_x2 v[0:1], v[50:51], off offset:8
.LBB3_1153:                             ;   in Loop: Header=BB3_3 Depth=1
	s_or_b64 exec, exec, s[18:19]
	s_waitcnt vmcnt(0)
	global_load_dwordx2 v[2:3], v[0:1], off offset:16
	s_waitcnt vmcnt(0)
	v_cmp_eq_u64_e32 vcc, 0, v[2:3]
	s_cbranch_vccnz .LBB3_1155
; %bb.1154:                             ;   in Loop: Header=BB3_3 Depth=1
	global_load_dword v50, v[0:1], off offset:24
	s_waitcnt vmcnt(0)
	v_and_b32_e32 v0, 0xffffff, v50
	v_readfirstlane_b32 m0, v0
	buffer_wbl2
	global_store_dwordx2 v[2:3], v[50:51], off
	s_sendmsg sendmsg(MSG_INTERRUPT)
.LBB3_1155:                             ;   in Loop: Header=BB3_3 Depth=1
	s_or_b64 exec, exec, s[16:17]
	v_add_co_u32_e32 v0, vcc, v8, v27
	v_addc_co_u32_e32 v1, vcc, 0, v9, vcc
	s_branch .LBB3_1159
.LBB3_1156:                             ;   in Loop: Header=BB3_1159 Depth=2
	s_or_b64 exec, exec, s[16:17]
	v_readfirstlane_b32 s16, v2
	s_cmp_eq_u32 s16, 0
	s_cbranch_scc1 .LBB3_1158
; %bb.1157:                             ;   in Loop: Header=BB3_1159 Depth=2
	s_sleep 1
	s_cbranch_execnz .LBB3_1159
	s_branch .LBB3_1161
.LBB3_1158:                             ;   in Loop: Header=BB3_3 Depth=1
	s_branch .LBB3_1161
.LBB3_1159:                             ;   Parent Loop BB3_3 Depth=1
                                        ; =>  This Inner Loop Header: Depth=2
	v_mov_b32_e32 v2, 1
	s_and_saveexec_b64 s[16:17], s[4:5]
	s_cbranch_execz .LBB3_1156
; %bb.1160:                             ;   in Loop: Header=BB3_1159 Depth=2
	global_load_dword v2, v[10:11], off offset:20 glc
	s_waitcnt vmcnt(0)
	buffer_invl2
	buffer_wbinvl1_vol
	v_and_b32_e32 v2, 1, v2
	s_branch .LBB3_1156
.LBB3_1161:                             ;   in Loop: Header=BB3_3 Depth=1
	global_load_dwordx2 v[4:5], v[0:1], off
	s_and_saveexec_b64 s[16:17], s[4:5]
	s_cbranch_execz .LBB3_1165
; %bb.1162:                             ;   in Loop: Header=BB3_3 Depth=1
	global_load_dwordx2 v[6:7], v51, s[12:13] offset:40
	global_load_dwordx2 v[8:9], v51, s[12:13] offset:24 glc
	global_load_dwordx2 v[10:11], v51, s[12:13]
	v_mov_b32_e32 v1, s15
	s_waitcnt vmcnt(2)
	v_add_co_u32_e32 v3, vcc, 1, v6
	v_addc_co_u32_e32 v12, vcc, 0, v7, vcc
	v_add_co_u32_e32 v0, vcc, s14, v3
	v_addc_co_u32_e32 v1, vcc, v12, v1, vcc
	v_cmp_eq_u64_e32 vcc, 0, v[0:1]
	v_cndmask_b32_e32 v1, v1, v12, vcc
	v_cndmask_b32_e32 v0, v0, v3, vcc
	v_and_b32_e32 v3, v1, v7
	v_and_b32_e32 v6, v0, v6
	v_mul_lo_u32 v3, v3, 24
	v_mul_hi_u32 v7, v6, 24
	v_mul_lo_u32 v6, v6, 24
	v_add_u32_e32 v3, v7, v3
	s_waitcnt vmcnt(0)
	v_add_co_u32_e32 v6, vcc, v10, v6
	v_addc_co_u32_e32 v7, vcc, v11, v3, vcc
	v_mov_b32_e32 v2, v8
	global_store_dwordx2 v[6:7], v[8:9], off
	v_mov_b32_e32 v3, v9
	buffer_wbl2
	s_waitcnt vmcnt(0)
	global_atomic_cmpswap_x2 v[2:3], v51, v[0:3], s[12:13] offset:24 glc
	s_waitcnt vmcnt(0)
	v_cmp_ne_u64_e32 vcc, v[2:3], v[8:9]
	s_and_b64 exec, exec, vcc
	s_cbranch_execz .LBB3_1165
; %bb.1163:                             ;   in Loop: Header=BB3_3 Depth=1
	s_mov_b64 s[4:5], 0
.LBB3_1164:                             ;   Parent Loop BB3_3 Depth=1
                                        ; =>  This Inner Loop Header: Depth=2
	s_sleep 1
	global_store_dwordx2 v[6:7], v[2:3], off
	buffer_wbl2
	s_waitcnt vmcnt(0)
	global_atomic_cmpswap_x2 v[8:9], v51, v[0:3], s[12:13] offset:24 glc
	s_waitcnt vmcnt(0)
	v_cmp_eq_u64_e32 vcc, v[8:9], v[2:3]
	s_or_b64 s[4:5], vcc, s[4:5]
	v_pk_mov_b32 v[2:3], v[8:9], v[8:9] op_sel:[0,1]
	s_andn2_b64 exec, exec, s[4:5]
	s_cbranch_execnz .LBB3_1164
.LBB3_1165:                             ;   in Loop: Header=BB3_3 Depth=1
	s_or_b64 exec, exec, s[16:17]
	v_readfirstlane_b32 s4, v57
	v_cmp_eq_u32_e64 s[4:5], s4, v57
	v_pk_mov_b32 v[6:7], 0, 0
	s_and_saveexec_b64 s[14:15], s[4:5]
	s_cbranch_execz .LBB3_1171
; %bb.1166:                             ;   in Loop: Header=BB3_3 Depth=1
	global_load_dwordx2 v[2:3], v51, s[12:13] offset:24 glc
	s_waitcnt vmcnt(0)
	buffer_invl2
	buffer_wbinvl1_vol
	global_load_dwordx2 v[0:1], v51, s[12:13] offset:40
	global_load_dwordx2 v[6:7], v51, s[12:13]
	s_waitcnt vmcnt(1)
	v_and_b32_e32 v0, v0, v2
	v_and_b32_e32 v1, v1, v3
	v_mul_lo_u32 v1, v1, 24
	v_mul_hi_u32 v8, v0, 24
	v_mul_lo_u32 v0, v0, 24
	v_add_u32_e32 v1, v8, v1
	s_waitcnt vmcnt(0)
	v_add_co_u32_e32 v0, vcc, v6, v0
	v_addc_co_u32_e32 v1, vcc, v7, v1, vcc
	global_load_dwordx2 v[0:1], v[0:1], off glc
	s_waitcnt vmcnt(0)
	global_atomic_cmpswap_x2 v[6:7], v51, v[0:3], s[12:13] offset:24 glc
	s_waitcnt vmcnt(0)
	buffer_invl2
	buffer_wbinvl1_vol
	v_cmp_ne_u64_e32 vcc, v[6:7], v[2:3]
	s_and_saveexec_b64 s[16:17], vcc
	s_cbranch_execz .LBB3_1170
; %bb.1167:                             ;   in Loop: Header=BB3_3 Depth=1
	s_mov_b64 s[18:19], 0
.LBB3_1168:                             ;   Parent Loop BB3_3 Depth=1
                                        ; =>  This Inner Loop Header: Depth=2
	s_sleep 1
	global_load_dwordx2 v[0:1], v51, s[12:13] offset:40
	global_load_dwordx2 v[8:9], v51, s[12:13]
	v_pk_mov_b32 v[2:3], v[6:7], v[6:7] op_sel:[0,1]
	s_waitcnt vmcnt(1)
	v_and_b32_e32 v0, v0, v2
	v_and_b32_e32 v7, v1, v3
	s_waitcnt vmcnt(0)
	v_mad_u64_u32 v[0:1], s[20:21], v0, 24, v[8:9]
	v_mov_b32_e32 v6, v1
	v_mad_u64_u32 v[6:7], s[20:21], v7, 24, v[6:7]
	v_mov_b32_e32 v1, v6
	global_load_dwordx2 v[0:1], v[0:1], off glc
	s_waitcnt vmcnt(0)
	global_atomic_cmpswap_x2 v[6:7], v51, v[0:3], s[12:13] offset:24 glc
	s_waitcnt vmcnt(0)
	buffer_invl2
	buffer_wbinvl1_vol
	v_cmp_eq_u64_e32 vcc, v[6:7], v[2:3]
	s_or_b64 s[18:19], vcc, s[18:19]
	s_andn2_b64 exec, exec, s[18:19]
	s_cbranch_execnz .LBB3_1168
; %bb.1169:                             ;   in Loop: Header=BB3_3 Depth=1
	s_or_b64 exec, exec, s[18:19]
.LBB3_1170:                             ;   in Loop: Header=BB3_3 Depth=1
	s_or_b64 exec, exec, s[16:17]
.LBB3_1171:                             ;   in Loop: Header=BB3_3 Depth=1
	s_or_b64 exec, exec, s[14:15]
	global_load_dwordx2 v[8:9], v51, s[12:13] offset:40
	global_load_dwordx4 v[0:3], v51, s[12:13]
	v_readfirstlane_b32 s14, v6
	v_readfirstlane_b32 s15, v7
	s_mov_b64 s[16:17], exec
	s_waitcnt vmcnt(1)
	v_readfirstlane_b32 s18, v8
	v_readfirstlane_b32 s19, v9
	s_and_b64 s[18:19], s[14:15], s[18:19]
	s_mul_i32 s20, s19, 24
	s_mul_hi_u32 s21, s18, 24
	s_mul_i32 s22, s18, 24
	s_add_i32 s20, s21, s20
	v_mov_b32_e32 v6, s20
	s_waitcnt vmcnt(0)
	v_add_co_u32_e32 v8, vcc, s22, v0
	v_addc_co_u32_e32 v9, vcc, v1, v6, vcc
	s_and_saveexec_b64 s[20:21], s[4:5]
	s_cbranch_execz .LBB3_1173
; %bb.1172:                             ;   in Loop: Header=BB3_3 Depth=1
	v_pk_mov_b32 v[40:41], s[16:17], s[16:17] op_sel:[0,1]
	global_store_dwordx4 v[8:9], v[40:43], off offset:8
.LBB3_1173:                             ;   in Loop: Header=BB3_3 Depth=1
	s_or_b64 exec, exec, s[20:21]
	s_lshl_b64 s[16:17], s[18:19], 12
	v_mov_b32_e32 v6, s17
	v_add_co_u32_e32 v10, vcc, s16, v2
	v_addc_co_u32_e32 v3, vcc, v3, v6, vcc
	v_sub_u32_e32 v2, v26, v28
	v_and_or_b32 v4, v4, s71, 32
	v_mov_b32_e32 v6, v2
	v_mov_b32_e32 v7, v51
	v_readfirstlane_b32 s16, v10
	v_readfirstlane_b32 s17, v3
	s_mov_b32 s29, s28
	s_mov_b32 s30, s28
	s_mov_b32 s31, s28
	s_nop 1
	global_store_dwordx4 v27, v[4:7], s[16:17]
	s_nop 0
	v_pk_mov_b32 v[4:5], s[28:29], s[28:29] op_sel:[0,1]
	v_pk_mov_b32 v[6:7], s[30:31], s[30:31] op_sel:[0,1]
	global_store_dwordx4 v27, v[4:7], s[16:17] offset:16
	global_store_dwordx4 v27, v[4:7], s[16:17] offset:32
	;; [unrolled: 1-line block ×3, first 2 shown]
	s_and_saveexec_b64 s[16:17], s[4:5]
	s_cbranch_execz .LBB3_1181
; %bb.1174:                             ;   in Loop: Header=BB3_3 Depth=1
	global_load_dwordx2 v[14:15], v51, s[12:13] offset:32 glc
	global_load_dwordx2 v[4:5], v51, s[12:13] offset:40
	v_mov_b32_e32 v12, s14
	v_mov_b32_e32 v13, s15
	s_waitcnt vmcnt(0)
	v_readfirstlane_b32 s18, v4
	v_readfirstlane_b32 s19, v5
	s_and_b64 s[18:19], s[18:19], s[14:15]
	s_mul_i32 s19, s19, 24
	s_mul_hi_u32 s20, s18, 24
	s_mul_i32 s18, s18, 24
	s_add_i32 s19, s20, s19
	v_mov_b32_e32 v4, s19
	v_add_co_u32_e32 v0, vcc, s18, v0
	v_addc_co_u32_e32 v1, vcc, v1, v4, vcc
	global_store_dwordx2 v[0:1], v[14:15], off
	buffer_wbl2
	s_waitcnt vmcnt(0)
	global_atomic_cmpswap_x2 v[6:7], v51, v[12:15], s[12:13] offset:32 glc
	s_waitcnt vmcnt(0)
	v_cmp_ne_u64_e32 vcc, v[6:7], v[14:15]
	s_and_saveexec_b64 s[18:19], vcc
	s_cbranch_execz .LBB3_1177
; %bb.1175:                             ;   in Loop: Header=BB3_3 Depth=1
	s_mov_b64 s[20:21], 0
.LBB3_1176:                             ;   Parent Loop BB3_3 Depth=1
                                        ; =>  This Inner Loop Header: Depth=2
	s_sleep 1
	global_store_dwordx2 v[0:1], v[6:7], off
	v_mov_b32_e32 v4, s14
	v_mov_b32_e32 v5, s15
	buffer_wbl2
	s_waitcnt vmcnt(0)
	global_atomic_cmpswap_x2 v[4:5], v51, v[4:7], s[12:13] offset:32 glc
	s_waitcnt vmcnt(0)
	v_cmp_eq_u64_e32 vcc, v[4:5], v[6:7]
	s_or_b64 s[20:21], vcc, s[20:21]
	v_pk_mov_b32 v[6:7], v[4:5], v[4:5] op_sel:[0,1]
	s_andn2_b64 exec, exec, s[20:21]
	s_cbranch_execnz .LBB3_1176
.LBB3_1177:                             ;   in Loop: Header=BB3_3 Depth=1
	s_or_b64 exec, exec, s[18:19]
	global_load_dwordx2 v[0:1], v51, s[12:13] offset:16
	s_mov_b64 s[20:21], exec
	v_mbcnt_lo_u32_b32 v4, s20, 0
	v_mbcnt_hi_u32_b32 v4, s21, v4
	v_cmp_eq_u32_e32 vcc, 0, v4
	s_and_saveexec_b64 s[18:19], vcc
	s_cbranch_execz .LBB3_1179
; %bb.1178:                             ;   in Loop: Header=BB3_3 Depth=1
	s_bcnt1_i32_b64 s20, s[20:21]
	v_mov_b32_e32 v4, s20
	v_mov_b32_e32 v5, v51
	buffer_wbl2
	s_waitcnt vmcnt(0)
	global_atomic_add_x2 v[0:1], v[4:5], off offset:8
.LBB3_1179:                             ;   in Loop: Header=BB3_3 Depth=1
	s_or_b64 exec, exec, s[18:19]
	s_waitcnt vmcnt(0)
	global_load_dwordx2 v[4:5], v[0:1], off offset:16
	s_waitcnt vmcnt(0)
	v_cmp_eq_u64_e32 vcc, 0, v[4:5]
	s_cbranch_vccnz .LBB3_1181
; %bb.1180:                             ;   in Loop: Header=BB3_3 Depth=1
	global_load_dword v0, v[0:1], off offset:24
	v_mov_b32_e32 v1, v51
	buffer_wbl2
	s_waitcnt vmcnt(0)
	global_store_dwordx2 v[4:5], v[0:1], off
	v_and_b32_e32 v0, 0xffffff, v0
	v_readfirstlane_b32 m0, v0
	s_sendmsg sendmsg(MSG_INTERRUPT)
.LBB3_1181:                             ;   in Loop: Header=BB3_3 Depth=1
	s_or_b64 exec, exec, s[16:17]
	v_add_co_u32_e32 v0, vcc, v10, v27
	v_addc_co_u32_e32 v1, vcc, 0, v3, vcc
	s_branch .LBB3_1185
.LBB3_1182:                             ;   in Loop: Header=BB3_1185 Depth=2
	s_or_b64 exec, exec, s[16:17]
	v_readfirstlane_b32 s16, v3
	s_cmp_eq_u32 s16, 0
	s_cbranch_scc1 .LBB3_1184
; %bb.1183:                             ;   in Loop: Header=BB3_1185 Depth=2
	s_sleep 1
	s_cbranch_execnz .LBB3_1185
	s_branch .LBB3_1187
.LBB3_1184:                             ;   in Loop: Header=BB3_3 Depth=1
	s_branch .LBB3_1187
.LBB3_1185:                             ;   Parent Loop BB3_3 Depth=1
                                        ; =>  This Inner Loop Header: Depth=2
	v_mov_b32_e32 v3, 1
	s_and_saveexec_b64 s[16:17], s[4:5]
	s_cbranch_execz .LBB3_1182
; %bb.1186:                             ;   in Loop: Header=BB3_1185 Depth=2
	global_load_dword v3, v[8:9], off offset:20 glc
	s_waitcnt vmcnt(0)
	buffer_invl2
	buffer_wbinvl1_vol
	v_and_b32_e32 v3, 1, v3
	s_branch .LBB3_1182
.LBB3_1187:                             ;   in Loop: Header=BB3_3 Depth=1
	global_load_dwordx2 v[0:1], v[0:1], off
	s_and_saveexec_b64 s[16:17], s[4:5]
	s_cbranch_execz .LBB3_1191
; %bb.1188:                             ;   in Loop: Header=BB3_3 Depth=1
	global_load_dwordx2 v[8:9], v51, s[12:13] offset:40
	global_load_dwordx2 v[10:11], v51, s[12:13] offset:24 glc
	global_load_dwordx2 v[12:13], v51, s[12:13]
	v_mov_b32_e32 v3, s15
	s_waitcnt vmcnt(2)
	v_add_co_u32_e32 v7, vcc, 1, v8
	v_addc_co_u32_e32 v14, vcc, 0, v9, vcc
	v_add_co_u32_e32 v4, vcc, s14, v7
	v_addc_co_u32_e32 v5, vcc, v14, v3, vcc
	v_cmp_eq_u64_e32 vcc, 0, v[4:5]
	v_cndmask_b32_e32 v5, v5, v14, vcc
	v_cndmask_b32_e32 v4, v4, v7, vcc
	v_and_b32_e32 v3, v5, v9
	v_and_b32_e32 v7, v4, v8
	v_mul_lo_u32 v3, v3, 24
	v_mul_hi_u32 v8, v7, 24
	v_mul_lo_u32 v7, v7, 24
	v_add_u32_e32 v3, v8, v3
	s_waitcnt vmcnt(0)
	v_add_co_u32_e32 v8, vcc, v12, v7
	v_addc_co_u32_e32 v9, vcc, v13, v3, vcc
	v_mov_b32_e32 v6, v10
	global_store_dwordx2 v[8:9], v[10:11], off
	v_mov_b32_e32 v7, v11
	buffer_wbl2
	s_waitcnt vmcnt(0)
	global_atomic_cmpswap_x2 v[6:7], v51, v[4:7], s[12:13] offset:24 glc
	s_waitcnt vmcnt(0)
	v_cmp_ne_u64_e32 vcc, v[6:7], v[10:11]
	s_and_b64 exec, exec, vcc
	s_cbranch_execz .LBB3_1191
; %bb.1189:                             ;   in Loop: Header=BB3_3 Depth=1
	s_mov_b64 s[4:5], 0
.LBB3_1190:                             ;   Parent Loop BB3_3 Depth=1
                                        ; =>  This Inner Loop Header: Depth=2
	s_sleep 1
	global_store_dwordx2 v[8:9], v[6:7], off
	buffer_wbl2
	s_waitcnt vmcnt(0)
	global_atomic_cmpswap_x2 v[10:11], v51, v[4:7], s[12:13] offset:24 glc
	s_waitcnt vmcnt(0)
	v_cmp_eq_u64_e32 vcc, v[10:11], v[6:7]
	s_or_b64 s[4:5], vcc, s[4:5]
	v_pk_mov_b32 v[6:7], v[10:11], v[10:11] op_sel:[0,1]
	s_andn2_b64 exec, exec, s[4:5]
	s_cbranch_execnz .LBB3_1190
.LBB3_1191:                             ;   in Loop: Header=BB3_3 Depth=1
	s_or_b64 exec, exec, s[16:17]
	v_readfirstlane_b32 s4, v57
	v_cmp_eq_u32_e64 s[4:5], s4, v57
	v_pk_mov_b32 v[8:9], 0, 0
	s_and_saveexec_b64 s[14:15], s[4:5]
	s_cbranch_execz .LBB3_1197
; %bb.1192:                             ;   in Loop: Header=BB3_3 Depth=1
	global_load_dwordx2 v[6:7], v51, s[12:13] offset:24 glc
	s_waitcnt vmcnt(0)
	buffer_invl2
	buffer_wbinvl1_vol
	global_load_dwordx2 v[4:5], v51, s[12:13] offset:40
	global_load_dwordx2 v[8:9], v51, s[12:13]
	s_waitcnt vmcnt(1)
	v_and_b32_e32 v3, v4, v6
	v_and_b32_e32 v4, v5, v7
	v_mul_lo_u32 v4, v4, 24
	v_mul_hi_u32 v5, v3, 24
	v_mul_lo_u32 v3, v3, 24
	v_add_u32_e32 v5, v5, v4
	s_waitcnt vmcnt(0)
	v_add_co_u32_e32 v4, vcc, v8, v3
	v_addc_co_u32_e32 v5, vcc, v9, v5, vcc
	global_load_dwordx2 v[4:5], v[4:5], off glc
	s_waitcnt vmcnt(0)
	global_atomic_cmpswap_x2 v[8:9], v51, v[4:7], s[12:13] offset:24 glc
	s_waitcnt vmcnt(0)
	buffer_invl2
	buffer_wbinvl1_vol
	v_cmp_ne_u64_e32 vcc, v[8:9], v[6:7]
	s_and_saveexec_b64 s[16:17], vcc
	s_cbranch_execz .LBB3_1196
; %bb.1193:                             ;   in Loop: Header=BB3_3 Depth=1
	s_mov_b64 s[18:19], 0
.LBB3_1194:                             ;   Parent Loop BB3_3 Depth=1
                                        ; =>  This Inner Loop Header: Depth=2
	s_sleep 1
	global_load_dwordx2 v[4:5], v51, s[12:13] offset:40
	global_load_dwordx2 v[10:11], v51, s[12:13]
	v_pk_mov_b32 v[6:7], v[8:9], v[8:9] op_sel:[0,1]
	s_waitcnt vmcnt(1)
	v_and_b32_e32 v4, v4, v6
	v_and_b32_e32 v3, v5, v7
	s_waitcnt vmcnt(0)
	v_mad_u64_u32 v[4:5], s[20:21], v4, 24, v[10:11]
	v_mov_b32_e32 v8, v5
	v_mad_u64_u32 v[8:9], s[20:21], v3, 24, v[8:9]
	v_mov_b32_e32 v5, v8
	global_load_dwordx2 v[4:5], v[4:5], off glc
	s_waitcnt vmcnt(0)
	global_atomic_cmpswap_x2 v[8:9], v51, v[4:7], s[12:13] offset:24 glc
	s_waitcnt vmcnt(0)
	buffer_invl2
	buffer_wbinvl1_vol
	v_cmp_eq_u64_e32 vcc, v[8:9], v[6:7]
	s_or_b64 s[18:19], vcc, s[18:19]
	s_andn2_b64 exec, exec, s[18:19]
	s_cbranch_execnz .LBB3_1194
; %bb.1195:                             ;   in Loop: Header=BB3_3 Depth=1
	s_or_b64 exec, exec, s[18:19]
.LBB3_1196:                             ;   in Loop: Header=BB3_3 Depth=1
	s_or_b64 exec, exec, s[16:17]
.LBB3_1197:                             ;   in Loop: Header=BB3_3 Depth=1
	s_or_b64 exec, exec, s[14:15]
	global_load_dwordx2 v[10:11], v51, s[12:13] offset:40
	global_load_dwordx4 v[4:7], v51, s[12:13]
	v_readfirstlane_b32 s14, v8
	v_readfirstlane_b32 s15, v9
	s_mov_b64 s[16:17], exec
	s_waitcnt vmcnt(1)
	v_readfirstlane_b32 s18, v10
	v_readfirstlane_b32 s19, v11
	s_and_b64 s[18:19], s[14:15], s[18:19]
	s_mul_i32 s20, s19, 24
	s_mul_hi_u32 s21, s18, 24
	s_mul_i32 s22, s18, 24
	s_add_i32 s20, s21, s20
	v_mov_b32_e32 v3, s20
	s_waitcnt vmcnt(0)
	v_add_co_u32_e32 v8, vcc, s22, v4
	v_addc_co_u32_e32 v9, vcc, v5, v3, vcc
	s_and_saveexec_b64 s[20:21], s[4:5]
	s_cbranch_execz .LBB3_1199
; %bb.1198:                             ;   in Loop: Header=BB3_3 Depth=1
	v_pk_mov_b32 v[40:41], s[16:17], s[16:17] op_sel:[0,1]
	global_store_dwordx4 v[8:9], v[40:43], off offset:8
.LBB3_1199:                             ;   in Loop: Header=BB3_3 Depth=1
	s_or_b64 exec, exec, s[20:21]
	s_lshl_b64 s[16:17], s[18:19], 12
	v_mov_b32_e32 v3, s17
	v_add_co_u32_e32 v6, vcc, s16, v6
	v_addc_co_u32_e32 v7, vcc, v7, v3, vcc
	v_and_or_b32 v0, v0, s72, 34
	v_mov_b32_e32 v3, v51
	v_readfirstlane_b32 s16, v6
	v_readfirstlane_b32 s17, v7
	s_mov_b32 s29, s28
	s_mov_b32 s30, s28
	;; [unrolled: 1-line block ×3, first 2 shown]
	s_nop 1
	global_store_dwordx4 v27, v[0:3], s[16:17]
	s_nop 0
	v_pk_mov_b32 v[0:1], s[28:29], s[28:29] op_sel:[0,1]
	v_pk_mov_b32 v[2:3], s[30:31], s[30:31] op_sel:[0,1]
	global_store_dwordx4 v27, v[0:3], s[16:17] offset:16
	global_store_dwordx4 v27, v[0:3], s[16:17] offset:32
	;; [unrolled: 1-line block ×3, first 2 shown]
	s_and_saveexec_b64 s[16:17], s[4:5]
	s_cbranch_execz .LBB3_1207
; %bb.1200:                             ;   in Loop: Header=BB3_3 Depth=1
	global_load_dwordx2 v[12:13], v51, s[12:13] offset:32 glc
	global_load_dwordx2 v[0:1], v51, s[12:13] offset:40
	v_mov_b32_e32 v10, s14
	v_mov_b32_e32 v11, s15
	s_waitcnt vmcnt(0)
	v_readfirstlane_b32 s18, v0
	v_readfirstlane_b32 s19, v1
	s_and_b64 s[18:19], s[18:19], s[14:15]
	s_mul_i32 s19, s19, 24
	s_mul_hi_u32 s20, s18, 24
	s_mul_i32 s18, s18, 24
	s_add_i32 s19, s20, s19
	v_mov_b32_e32 v0, s19
	v_add_co_u32_e32 v4, vcc, s18, v4
	v_addc_co_u32_e32 v5, vcc, v5, v0, vcc
	global_store_dwordx2 v[4:5], v[12:13], off
	buffer_wbl2
	s_waitcnt vmcnt(0)
	global_atomic_cmpswap_x2 v[2:3], v51, v[10:13], s[12:13] offset:32 glc
	s_waitcnt vmcnt(0)
	v_cmp_ne_u64_e32 vcc, v[2:3], v[12:13]
	s_and_saveexec_b64 s[18:19], vcc
	s_cbranch_execz .LBB3_1203
; %bb.1201:                             ;   in Loop: Header=BB3_3 Depth=1
	s_mov_b64 s[20:21], 0
.LBB3_1202:                             ;   Parent Loop BB3_3 Depth=1
                                        ; =>  This Inner Loop Header: Depth=2
	s_sleep 1
	global_store_dwordx2 v[4:5], v[2:3], off
	v_mov_b32_e32 v0, s14
	v_mov_b32_e32 v1, s15
	buffer_wbl2
	s_waitcnt vmcnt(0)
	global_atomic_cmpswap_x2 v[0:1], v51, v[0:3], s[12:13] offset:32 glc
	s_waitcnt vmcnt(0)
	v_cmp_eq_u64_e32 vcc, v[0:1], v[2:3]
	s_or_b64 s[20:21], vcc, s[20:21]
	v_pk_mov_b32 v[2:3], v[0:1], v[0:1] op_sel:[0,1]
	s_andn2_b64 exec, exec, s[20:21]
	s_cbranch_execnz .LBB3_1202
.LBB3_1203:                             ;   in Loop: Header=BB3_3 Depth=1
	s_or_b64 exec, exec, s[18:19]
	global_load_dwordx2 v[0:1], v51, s[12:13] offset:16
	s_mov_b64 s[20:21], exec
	v_mbcnt_lo_u32_b32 v2, s20, 0
	v_mbcnt_hi_u32_b32 v2, s21, v2
	v_cmp_eq_u32_e32 vcc, 0, v2
	s_and_saveexec_b64 s[18:19], vcc
	s_cbranch_execz .LBB3_1205
; %bb.1204:                             ;   in Loop: Header=BB3_3 Depth=1
	s_bcnt1_i32_b64 s20, s[20:21]
	v_mov_b32_e32 v50, s20
	buffer_wbl2
	s_waitcnt vmcnt(0)
	global_atomic_add_x2 v[0:1], v[50:51], off offset:8
.LBB3_1205:                             ;   in Loop: Header=BB3_3 Depth=1
	s_or_b64 exec, exec, s[18:19]
	s_waitcnt vmcnt(0)
	global_load_dwordx2 v[2:3], v[0:1], off offset:16
	s_waitcnt vmcnt(0)
	v_cmp_eq_u64_e32 vcc, 0, v[2:3]
	s_cbranch_vccnz .LBB3_1207
; %bb.1206:                             ;   in Loop: Header=BB3_3 Depth=1
	global_load_dword v50, v[0:1], off offset:24
	s_waitcnt vmcnt(0)
	v_and_b32_e32 v0, 0xffffff, v50
	v_readfirstlane_b32 m0, v0
	buffer_wbl2
	global_store_dwordx2 v[2:3], v[50:51], off
	s_sendmsg sendmsg(MSG_INTERRUPT)
.LBB3_1207:                             ;   in Loop: Header=BB3_3 Depth=1
	s_or_b64 exec, exec, s[16:17]
	v_add_co_u32_e32 v0, vcc, v6, v27
	v_addc_co_u32_e32 v1, vcc, 0, v7, vcc
	s_branch .LBB3_1211
.LBB3_1208:                             ;   in Loop: Header=BB3_1211 Depth=2
	s_or_b64 exec, exec, s[16:17]
	v_readfirstlane_b32 s16, v2
	s_cmp_eq_u32 s16, 0
	s_cbranch_scc1 .LBB3_1210
; %bb.1209:                             ;   in Loop: Header=BB3_1211 Depth=2
	s_sleep 1
	s_cbranch_execnz .LBB3_1211
	s_branch .LBB3_1213
.LBB3_1210:                             ;   in Loop: Header=BB3_3 Depth=1
	s_branch .LBB3_1213
.LBB3_1211:                             ;   Parent Loop BB3_3 Depth=1
                                        ; =>  This Inner Loop Header: Depth=2
	v_mov_b32_e32 v2, 1
	s_and_saveexec_b64 s[16:17], s[4:5]
	s_cbranch_execz .LBB3_1208
; %bb.1212:                             ;   in Loop: Header=BB3_1211 Depth=2
	global_load_dword v2, v[8:9], off offset:20 glc
	s_waitcnt vmcnt(0)
	buffer_invl2
	buffer_wbinvl1_vol
	v_and_b32_e32 v2, 1, v2
	s_branch .LBB3_1208
.LBB3_1213:                             ;   in Loop: Header=BB3_3 Depth=1
	global_load_dwordx2 v[0:1], v[0:1], off
	s_and_saveexec_b64 s[16:17], s[4:5]
	s_cbranch_execz .LBB3_1217
; %bb.1214:                             ;   in Loop: Header=BB3_3 Depth=1
	global_load_dwordx2 v[6:7], v51, s[12:13] offset:40
	global_load_dwordx2 v[8:9], v51, s[12:13] offset:24 glc
	global_load_dwordx2 v[10:11], v51, s[12:13]
	s_waitcnt vmcnt(3)
	v_mov_b32_e32 v1, s15
	s_waitcnt vmcnt(2)
	v_add_co_u32_e32 v5, vcc, 1, v6
	v_addc_co_u32_e32 v12, vcc, 0, v7, vcc
	v_add_co_u32_e32 v2, vcc, s14, v5
	v_addc_co_u32_e32 v3, vcc, v12, v1, vcc
	v_cmp_eq_u64_e32 vcc, 0, v[2:3]
	v_cndmask_b32_e32 v3, v3, v12, vcc
	v_cndmask_b32_e32 v2, v2, v5, vcc
	v_and_b32_e32 v1, v3, v7
	v_and_b32_e32 v5, v2, v6
	v_mul_lo_u32 v1, v1, 24
	v_mul_hi_u32 v6, v5, 24
	v_mul_lo_u32 v5, v5, 24
	v_add_u32_e32 v1, v6, v1
	s_waitcnt vmcnt(0)
	v_add_co_u32_e32 v6, vcc, v10, v5
	v_addc_co_u32_e32 v7, vcc, v11, v1, vcc
	v_mov_b32_e32 v4, v8
	global_store_dwordx2 v[6:7], v[8:9], off
	v_mov_b32_e32 v5, v9
	buffer_wbl2
	s_waitcnt vmcnt(0)
	global_atomic_cmpswap_x2 v[4:5], v51, v[2:5], s[12:13] offset:24 glc
	s_waitcnt vmcnt(0)
	v_cmp_ne_u64_e32 vcc, v[4:5], v[8:9]
	s_and_b64 exec, exec, vcc
	s_cbranch_execz .LBB3_1217
; %bb.1215:                             ;   in Loop: Header=BB3_3 Depth=1
	s_mov_b64 s[4:5], 0
.LBB3_1216:                             ;   Parent Loop BB3_3 Depth=1
                                        ; =>  This Inner Loop Header: Depth=2
	s_sleep 1
	global_store_dwordx2 v[6:7], v[4:5], off
	buffer_wbl2
	s_waitcnt vmcnt(0)
	global_atomic_cmpswap_x2 v[8:9], v51, v[2:5], s[12:13] offset:24 glc
	s_waitcnt vmcnt(0)
	v_cmp_eq_u64_e32 vcc, v[8:9], v[4:5]
	s_or_b64 s[4:5], vcc, s[4:5]
	v_pk_mov_b32 v[4:5], v[8:9], v[8:9] op_sel:[0,1]
	s_andn2_b64 exec, exec, s[4:5]
	s_cbranch_execnz .LBB3_1216
.LBB3_1217:                             ;   in Loop: Header=BB3_3 Depth=1
	s_or_b64 exec, exec, s[16:17]
	s_or_b64 exec, exec, s[10:11]
                                        ; implicit-def: $vgpr26
	s_andn2_saveexec_b64 s[8:9], s[8:9]
	s_cbranch_execnz .LBB3_910
	s_branch .LBB3_1545
.LBB3_1218:                             ;   in Loop: Header=BB3_3 Depth=1
                                        ; implicit-def: $vgpr2_vgpr3
	s_cbranch_execz .LBB3_1246
; %bb.1219:                             ;   in Loop: Header=BB3_3 Depth=1
	v_readfirstlane_b32 s4, v57
	v_cmp_eq_u32_e64 s[4:5], s4, v57
	s_waitcnt vmcnt(0)
	v_pk_mov_b32 v[2:3], 0, 0
	s_and_saveexec_b64 s[14:15], s[4:5]
	s_cbranch_execz .LBB3_1225
; %bb.1220:                             ;   in Loop: Header=BB3_3 Depth=1
	global_load_dwordx2 v[4:5], v51, s[12:13] offset:24 glc
	s_waitcnt vmcnt(0)
	buffer_invl2
	buffer_wbinvl1_vol
	global_load_dwordx2 v[2:3], v51, s[12:13] offset:40
	global_load_dwordx2 v[6:7], v51, s[12:13]
	s_waitcnt vmcnt(1)
	v_and_b32_e32 v2, v2, v4
	v_and_b32_e32 v3, v3, v5
	v_mul_lo_u32 v3, v3, 24
	v_mul_hi_u32 v8, v2, 24
	v_mul_lo_u32 v2, v2, 24
	v_add_u32_e32 v3, v8, v3
	s_waitcnt vmcnt(0)
	v_add_co_u32_e32 v2, vcc, v6, v2
	v_addc_co_u32_e32 v3, vcc, v7, v3, vcc
	global_load_dwordx2 v[2:3], v[2:3], off glc
	s_waitcnt vmcnt(0)
	global_atomic_cmpswap_x2 v[2:3], v51, v[2:5], s[12:13] offset:24 glc
	s_waitcnt vmcnt(0)
	buffer_invl2
	buffer_wbinvl1_vol
	v_cmp_ne_u64_e32 vcc, v[2:3], v[4:5]
	s_and_saveexec_b64 s[16:17], vcc
	s_cbranch_execz .LBB3_1224
; %bb.1221:                             ;   in Loop: Header=BB3_3 Depth=1
	s_mov_b64 s[18:19], 0
.LBB3_1222:                             ;   Parent Loop BB3_3 Depth=1
                                        ; =>  This Inner Loop Header: Depth=2
	s_sleep 1
	global_load_dwordx2 v[6:7], v51, s[12:13] offset:40
	global_load_dwordx2 v[8:9], v51, s[12:13]
	v_pk_mov_b32 v[4:5], v[2:3], v[2:3] op_sel:[0,1]
	s_waitcnt vmcnt(1)
	v_and_b32_e32 v2, v6, v4
	s_waitcnt vmcnt(0)
	v_mad_u64_u32 v[2:3], s[20:21], v2, 24, v[8:9]
	v_and_b32_e32 v7, v7, v5
	v_mov_b32_e32 v6, v3
	v_mad_u64_u32 v[6:7], s[20:21], v7, 24, v[6:7]
	v_mov_b32_e32 v3, v6
	global_load_dwordx2 v[2:3], v[2:3], off glc
	s_waitcnt vmcnt(0)
	global_atomic_cmpswap_x2 v[2:3], v51, v[2:5], s[12:13] offset:24 glc
	s_waitcnt vmcnt(0)
	buffer_invl2
	buffer_wbinvl1_vol
	v_cmp_eq_u64_e32 vcc, v[2:3], v[4:5]
	s_or_b64 s[18:19], vcc, s[18:19]
	s_andn2_b64 exec, exec, s[18:19]
	s_cbranch_execnz .LBB3_1222
; %bb.1223:                             ;   in Loop: Header=BB3_3 Depth=1
	s_or_b64 exec, exec, s[18:19]
.LBB3_1224:                             ;   in Loop: Header=BB3_3 Depth=1
	s_or_b64 exec, exec, s[16:17]
.LBB3_1225:                             ;   in Loop: Header=BB3_3 Depth=1
	s_or_b64 exec, exec, s[14:15]
	global_load_dwordx2 v[8:9], v51, s[12:13] offset:40
	global_load_dwordx4 v[4:7], v51, s[12:13]
	v_readfirstlane_b32 s14, v2
	v_readfirstlane_b32 s15, v3
	s_mov_b64 s[16:17], exec
	s_waitcnt vmcnt(1)
	v_readfirstlane_b32 s18, v8
	v_readfirstlane_b32 s19, v9
	s_and_b64 s[18:19], s[14:15], s[18:19]
	s_mul_i32 s20, s19, 24
	s_mul_hi_u32 s21, s18, 24
	s_mul_i32 s22, s18, 24
	s_add_i32 s20, s21, s20
	v_mov_b32_e32 v2, s20
	s_waitcnt vmcnt(0)
	v_add_co_u32_e32 v8, vcc, s22, v4
	v_addc_co_u32_e32 v9, vcc, v5, v2, vcc
	s_and_saveexec_b64 s[20:21], s[4:5]
	s_cbranch_execz .LBB3_1227
; %bb.1226:                             ;   in Loop: Header=BB3_3 Depth=1
	v_pk_mov_b32 v[40:41], s[16:17], s[16:17] op_sel:[0,1]
	global_store_dwordx4 v[8:9], v[40:43], off offset:8
.LBB3_1227:                             ;   in Loop: Header=BB3_3 Depth=1
	s_or_b64 exec, exec, s[20:21]
	s_lshl_b64 s[16:17], s[18:19], 12
	v_mov_b32_e32 v2, s17
	v_add_co_u32_e32 v6, vcc, s16, v6
	v_addc_co_u32_e32 v7, vcc, v7, v2, vcc
	v_and_or_b32 v0, v0, s71, 32
	v_mov_b32_e32 v2, v51
	v_mov_b32_e32 v3, v51
	v_readfirstlane_b32 s16, v6
	v_readfirstlane_b32 s17, v7
	s_mov_b32 s29, s28
	s_mov_b32 s30, s28
	;; [unrolled: 1-line block ×3, first 2 shown]
	s_nop 1
	global_store_dwordx4 v27, v[0:3], s[16:17]
	s_nop 0
	v_pk_mov_b32 v[0:1], s[28:29], s[28:29] op_sel:[0,1]
	v_pk_mov_b32 v[2:3], s[30:31], s[30:31] op_sel:[0,1]
	global_store_dwordx4 v27, v[0:3], s[16:17] offset:16
	global_store_dwordx4 v27, v[0:3], s[16:17] offset:32
	;; [unrolled: 1-line block ×3, first 2 shown]
	s_and_saveexec_b64 s[16:17], s[4:5]
	s_cbranch_execz .LBB3_1235
; %bb.1228:                             ;   in Loop: Header=BB3_3 Depth=1
	global_load_dwordx2 v[12:13], v51, s[12:13] offset:32 glc
	global_load_dwordx2 v[0:1], v51, s[12:13] offset:40
	v_mov_b32_e32 v10, s14
	v_mov_b32_e32 v11, s15
	s_waitcnt vmcnt(0)
	v_readfirstlane_b32 s18, v0
	v_readfirstlane_b32 s19, v1
	s_and_b64 s[18:19], s[18:19], s[14:15]
	s_mul_i32 s19, s19, 24
	s_mul_hi_u32 s20, s18, 24
	s_mul_i32 s18, s18, 24
	s_add_i32 s19, s20, s19
	v_mov_b32_e32 v0, s19
	v_add_co_u32_e32 v4, vcc, s18, v4
	v_addc_co_u32_e32 v5, vcc, v5, v0, vcc
	global_store_dwordx2 v[4:5], v[12:13], off
	buffer_wbl2
	s_waitcnt vmcnt(0)
	global_atomic_cmpswap_x2 v[2:3], v51, v[10:13], s[12:13] offset:32 glc
	s_waitcnt vmcnt(0)
	v_cmp_ne_u64_e32 vcc, v[2:3], v[12:13]
	s_and_saveexec_b64 s[18:19], vcc
	s_cbranch_execz .LBB3_1231
; %bb.1229:                             ;   in Loop: Header=BB3_3 Depth=1
	s_mov_b64 s[20:21], 0
.LBB3_1230:                             ;   Parent Loop BB3_3 Depth=1
                                        ; =>  This Inner Loop Header: Depth=2
	s_sleep 1
	global_store_dwordx2 v[4:5], v[2:3], off
	v_mov_b32_e32 v0, s14
	v_mov_b32_e32 v1, s15
	buffer_wbl2
	s_waitcnt vmcnt(0)
	global_atomic_cmpswap_x2 v[0:1], v51, v[0:3], s[12:13] offset:32 glc
	s_waitcnt vmcnt(0)
	v_cmp_eq_u64_e32 vcc, v[0:1], v[2:3]
	s_or_b64 s[20:21], vcc, s[20:21]
	v_pk_mov_b32 v[2:3], v[0:1], v[0:1] op_sel:[0,1]
	s_andn2_b64 exec, exec, s[20:21]
	s_cbranch_execnz .LBB3_1230
.LBB3_1231:                             ;   in Loop: Header=BB3_3 Depth=1
	s_or_b64 exec, exec, s[18:19]
	global_load_dwordx2 v[0:1], v51, s[12:13] offset:16
	s_mov_b64 s[20:21], exec
	v_mbcnt_lo_u32_b32 v2, s20, 0
	v_mbcnt_hi_u32_b32 v2, s21, v2
	v_cmp_eq_u32_e32 vcc, 0, v2
	s_and_saveexec_b64 s[18:19], vcc
	s_cbranch_execz .LBB3_1233
; %bb.1232:                             ;   in Loop: Header=BB3_3 Depth=1
	s_bcnt1_i32_b64 s20, s[20:21]
	v_mov_b32_e32 v50, s20
	buffer_wbl2
	s_waitcnt vmcnt(0)
	global_atomic_add_x2 v[0:1], v[50:51], off offset:8
.LBB3_1233:                             ;   in Loop: Header=BB3_3 Depth=1
	s_or_b64 exec, exec, s[18:19]
	s_waitcnt vmcnt(0)
	global_load_dwordx2 v[2:3], v[0:1], off offset:16
	s_waitcnt vmcnt(0)
	v_cmp_eq_u64_e32 vcc, 0, v[2:3]
	s_cbranch_vccnz .LBB3_1235
; %bb.1234:                             ;   in Loop: Header=BB3_3 Depth=1
	global_load_dword v50, v[0:1], off offset:24
	s_waitcnt vmcnt(0)
	v_and_b32_e32 v0, 0xffffff, v50
	v_readfirstlane_b32 m0, v0
	buffer_wbl2
	global_store_dwordx2 v[2:3], v[50:51], off
	s_sendmsg sendmsg(MSG_INTERRUPT)
.LBB3_1235:                             ;   in Loop: Header=BB3_3 Depth=1
	s_or_b64 exec, exec, s[16:17]
	v_add_co_u32_e32 v0, vcc, v6, v27
	v_addc_co_u32_e32 v1, vcc, 0, v7, vcc
	s_branch .LBB3_1239
.LBB3_1236:                             ;   in Loop: Header=BB3_1239 Depth=2
	s_or_b64 exec, exec, s[16:17]
	v_readfirstlane_b32 s16, v2
	s_cmp_eq_u32 s16, 0
	s_cbranch_scc1 .LBB3_1238
; %bb.1237:                             ;   in Loop: Header=BB3_1239 Depth=2
	s_sleep 1
	s_cbranch_execnz .LBB3_1239
	s_branch .LBB3_1241
.LBB3_1238:                             ;   in Loop: Header=BB3_3 Depth=1
	s_branch .LBB3_1241
.LBB3_1239:                             ;   Parent Loop BB3_3 Depth=1
                                        ; =>  This Inner Loop Header: Depth=2
	v_mov_b32_e32 v2, 1
	s_and_saveexec_b64 s[16:17], s[4:5]
	s_cbranch_execz .LBB3_1236
; %bb.1240:                             ;   in Loop: Header=BB3_1239 Depth=2
	global_load_dword v2, v[8:9], off offset:20 glc
	s_waitcnt vmcnt(0)
	buffer_invl2
	buffer_wbinvl1_vol
	v_and_b32_e32 v2, 1, v2
	s_branch .LBB3_1236
.LBB3_1241:                             ;   in Loop: Header=BB3_3 Depth=1
	global_load_dwordx2 v[2:3], v[0:1], off
	s_and_saveexec_b64 s[16:17], s[4:5]
	s_cbranch_execz .LBB3_1245
; %bb.1242:                             ;   in Loop: Header=BB3_3 Depth=1
	global_load_dwordx2 v[0:1], v51, s[12:13] offset:40
	global_load_dwordx2 v[8:9], v51, s[12:13] offset:24 glc
	global_load_dwordx2 v[10:11], v51, s[12:13]
	v_mov_b32_e32 v5, s15
	s_waitcnt vmcnt(2)
	v_add_co_u32_e32 v7, vcc, 1, v0
	v_addc_co_u32_e32 v12, vcc, 0, v1, vcc
	v_add_co_u32_e32 v4, vcc, s14, v7
	v_addc_co_u32_e32 v5, vcc, v12, v5, vcc
	v_cmp_eq_u64_e32 vcc, 0, v[4:5]
	v_cndmask_b32_e32 v5, v5, v12, vcc
	v_cndmask_b32_e32 v4, v4, v7, vcc
	v_and_b32_e32 v1, v5, v1
	v_and_b32_e32 v0, v4, v0
	v_mul_lo_u32 v1, v1, 24
	v_mul_hi_u32 v7, v0, 24
	v_mul_lo_u32 v0, v0, 24
	v_add_u32_e32 v1, v7, v1
	s_waitcnt vmcnt(0)
	v_add_co_u32_e32 v0, vcc, v10, v0
	v_addc_co_u32_e32 v1, vcc, v11, v1, vcc
	v_mov_b32_e32 v6, v8
	global_store_dwordx2 v[0:1], v[8:9], off
	v_mov_b32_e32 v7, v9
	buffer_wbl2
	s_waitcnt vmcnt(0)
	global_atomic_cmpswap_x2 v[6:7], v51, v[4:7], s[12:13] offset:24 glc
	s_waitcnt vmcnt(0)
	v_cmp_ne_u64_e32 vcc, v[6:7], v[8:9]
	s_and_b64 exec, exec, vcc
	s_cbranch_execz .LBB3_1245
; %bb.1243:                             ;   in Loop: Header=BB3_3 Depth=1
	s_mov_b64 s[4:5], 0
.LBB3_1244:                             ;   Parent Loop BB3_3 Depth=1
                                        ; =>  This Inner Loop Header: Depth=2
	s_sleep 1
	global_store_dwordx2 v[0:1], v[6:7], off
	buffer_wbl2
	s_waitcnt vmcnt(0)
	global_atomic_cmpswap_x2 v[8:9], v51, v[4:7], s[12:13] offset:24 glc
	s_waitcnt vmcnt(0)
	v_cmp_eq_u64_e32 vcc, v[8:9], v[6:7]
	s_or_b64 s[4:5], vcc, s[4:5]
	v_pk_mov_b32 v[6:7], v[8:9], v[8:9] op_sel:[0,1]
	s_andn2_b64 exec, exec, s[4:5]
	s_cbranch_execnz .LBB3_1244
.LBB3_1245:                             ;   in Loop: Header=BB3_3 Depth=1
	s_or_b64 exec, exec, s[16:17]
.LBB3_1246:                             ;   in Loop: Header=BB3_3 Depth=1
	v_readfirstlane_b32 s4, v57
	v_cmp_eq_u32_e64 s[4:5], s4, v57
	s_waitcnt vmcnt(0)
	v_pk_mov_b32 v[0:1], 0, 0
	s_and_saveexec_b64 s[14:15], s[4:5]
	s_cbranch_execz .LBB3_1252
; %bb.1247:                             ;   in Loop: Header=BB3_3 Depth=1
	global_load_dwordx2 v[6:7], v51, s[12:13] offset:24 glc
	s_waitcnt vmcnt(0)
	buffer_invl2
	buffer_wbinvl1_vol
	global_load_dwordx2 v[0:1], v51, s[12:13] offset:40
	global_load_dwordx2 v[4:5], v51, s[12:13]
	s_waitcnt vmcnt(1)
	v_and_b32_e32 v0, v0, v6
	v_and_b32_e32 v1, v1, v7
	v_mul_lo_u32 v1, v1, 24
	v_mul_hi_u32 v8, v0, 24
	v_mul_lo_u32 v0, v0, 24
	v_add_u32_e32 v1, v8, v1
	s_waitcnt vmcnt(0)
	v_add_co_u32_e32 v0, vcc, v4, v0
	v_addc_co_u32_e32 v1, vcc, v5, v1, vcc
	global_load_dwordx2 v[4:5], v[0:1], off glc
	s_waitcnt vmcnt(0)
	global_atomic_cmpswap_x2 v[0:1], v51, v[4:7], s[12:13] offset:24 glc
	s_waitcnt vmcnt(0)
	buffer_invl2
	buffer_wbinvl1_vol
	v_cmp_ne_u64_e32 vcc, v[0:1], v[6:7]
	s_and_saveexec_b64 s[16:17], vcc
	s_cbranch_execz .LBB3_1251
; %bb.1248:                             ;   in Loop: Header=BB3_3 Depth=1
	s_mov_b64 s[18:19], 0
.LBB3_1249:                             ;   Parent Loop BB3_3 Depth=1
                                        ; =>  This Inner Loop Header: Depth=2
	s_sleep 1
	global_load_dwordx2 v[4:5], v51, s[12:13] offset:40
	global_load_dwordx2 v[8:9], v51, s[12:13]
	v_pk_mov_b32 v[6:7], v[0:1], v[0:1] op_sel:[0,1]
	s_waitcnt vmcnt(1)
	v_and_b32_e32 v0, v4, v6
	s_waitcnt vmcnt(0)
	v_mad_u64_u32 v[0:1], s[20:21], v0, 24, v[8:9]
	v_and_b32_e32 v5, v5, v7
	v_mov_b32_e32 v4, v1
	v_mad_u64_u32 v[4:5], s[20:21], v5, 24, v[4:5]
	v_mov_b32_e32 v1, v4
	global_load_dwordx2 v[4:5], v[0:1], off glc
	s_waitcnt vmcnt(0)
	global_atomic_cmpswap_x2 v[0:1], v51, v[4:7], s[12:13] offset:24 glc
	s_waitcnt vmcnt(0)
	buffer_invl2
	buffer_wbinvl1_vol
	v_cmp_eq_u64_e32 vcc, v[0:1], v[6:7]
	s_or_b64 s[18:19], vcc, s[18:19]
	s_andn2_b64 exec, exec, s[18:19]
	s_cbranch_execnz .LBB3_1249
; %bb.1250:                             ;   in Loop: Header=BB3_3 Depth=1
	s_or_b64 exec, exec, s[18:19]
.LBB3_1251:                             ;   in Loop: Header=BB3_3 Depth=1
	s_or_b64 exec, exec, s[16:17]
.LBB3_1252:                             ;   in Loop: Header=BB3_3 Depth=1
	s_or_b64 exec, exec, s[14:15]
	global_load_dwordx2 v[4:5], v51, s[12:13] offset:40
	global_load_dwordx4 v[6:9], v51, s[12:13]
	v_readfirstlane_b32 s14, v0
	v_readfirstlane_b32 s15, v1
	s_mov_b64 s[16:17], exec
	s_waitcnt vmcnt(1)
	v_readfirstlane_b32 s18, v4
	v_readfirstlane_b32 s19, v5
	s_and_b64 s[18:19], s[14:15], s[18:19]
	s_mul_i32 s20, s19, 24
	s_mul_hi_u32 s21, s18, 24
	s_mul_i32 s22, s18, 24
	s_add_i32 s20, s21, s20
	v_mov_b32_e32 v0, s20
	s_waitcnt vmcnt(0)
	v_add_co_u32_e32 v10, vcc, s22, v6
	v_addc_co_u32_e32 v11, vcc, v7, v0, vcc
	s_and_saveexec_b64 s[20:21], s[4:5]
	s_cbranch_execz .LBB3_1254
; %bb.1253:                             ;   in Loop: Header=BB3_3 Depth=1
	v_pk_mov_b32 v[40:41], s[16:17], s[16:17] op_sel:[0,1]
	global_store_dwordx4 v[10:11], v[40:43], off offset:8
.LBB3_1254:                             ;   in Loop: Header=BB3_3 Depth=1
	s_or_b64 exec, exec, s[20:21]
	s_lshl_b64 s[16:17], s[18:19], 12
	v_mov_b32_e32 v0, s17
	v_add_co_u32_e32 v8, vcc, s16, v8
	v_addc_co_u32_e32 v9, vcc, v9, v0, vcc
	v_and_or_b32 v2, v2, s71, 32
	v_mov_b32_e32 v4, v54
	v_mov_b32_e32 v5, v55
	v_readfirstlane_b32 s16, v8
	v_readfirstlane_b32 s17, v9
	s_mov_b32 s29, s28
	s_mov_b32 s30, s28
	;; [unrolled: 1-line block ×3, first 2 shown]
	s_nop 1
	global_store_dwordx4 v27, v[2:5], s[16:17]
	v_pk_mov_b32 v[0:1], s[28:29], s[28:29] op_sel:[0,1]
	v_pk_mov_b32 v[2:3], s[30:31], s[30:31] op_sel:[0,1]
	global_store_dwordx4 v27, v[0:3], s[16:17] offset:16
	global_store_dwordx4 v27, v[0:3], s[16:17] offset:32
	;; [unrolled: 1-line block ×3, first 2 shown]
	s_and_saveexec_b64 s[16:17], s[4:5]
	s_cbranch_execz .LBB3_1262
; %bb.1255:                             ;   in Loop: Header=BB3_3 Depth=1
	global_load_dwordx2 v[14:15], v51, s[12:13] offset:32 glc
	global_load_dwordx2 v[0:1], v51, s[12:13] offset:40
	v_mov_b32_e32 v12, s14
	v_mov_b32_e32 v13, s15
	s_waitcnt vmcnt(0)
	v_readfirstlane_b32 s18, v0
	v_readfirstlane_b32 s19, v1
	s_and_b64 s[18:19], s[18:19], s[14:15]
	s_mul_i32 s19, s19, 24
	s_mul_hi_u32 s20, s18, 24
	s_mul_i32 s18, s18, 24
	s_add_i32 s19, s20, s19
	v_mov_b32_e32 v0, s19
	v_add_co_u32_e32 v4, vcc, s18, v6
	v_addc_co_u32_e32 v5, vcc, v7, v0, vcc
	global_store_dwordx2 v[4:5], v[14:15], off
	buffer_wbl2
	s_waitcnt vmcnt(0)
	global_atomic_cmpswap_x2 v[2:3], v51, v[12:15], s[12:13] offset:32 glc
	s_waitcnt vmcnt(0)
	v_cmp_ne_u64_e32 vcc, v[2:3], v[14:15]
	s_and_saveexec_b64 s[18:19], vcc
	s_cbranch_execz .LBB3_1258
; %bb.1256:                             ;   in Loop: Header=BB3_3 Depth=1
	s_mov_b64 s[20:21], 0
.LBB3_1257:                             ;   Parent Loop BB3_3 Depth=1
                                        ; =>  This Inner Loop Header: Depth=2
	s_sleep 1
	global_store_dwordx2 v[4:5], v[2:3], off
	v_mov_b32_e32 v0, s14
	v_mov_b32_e32 v1, s15
	buffer_wbl2
	s_waitcnt vmcnt(0)
	global_atomic_cmpswap_x2 v[0:1], v51, v[0:3], s[12:13] offset:32 glc
	s_waitcnt vmcnt(0)
	v_cmp_eq_u64_e32 vcc, v[0:1], v[2:3]
	s_or_b64 s[20:21], vcc, s[20:21]
	v_pk_mov_b32 v[2:3], v[0:1], v[0:1] op_sel:[0,1]
	s_andn2_b64 exec, exec, s[20:21]
	s_cbranch_execnz .LBB3_1257
.LBB3_1258:                             ;   in Loop: Header=BB3_3 Depth=1
	s_or_b64 exec, exec, s[18:19]
	global_load_dwordx2 v[0:1], v51, s[12:13] offset:16
	s_mov_b64 s[20:21], exec
	v_mbcnt_lo_u32_b32 v2, s20, 0
	v_mbcnt_hi_u32_b32 v2, s21, v2
	v_cmp_eq_u32_e32 vcc, 0, v2
	s_and_saveexec_b64 s[18:19], vcc
	s_cbranch_execz .LBB3_1260
; %bb.1259:                             ;   in Loop: Header=BB3_3 Depth=1
	s_bcnt1_i32_b64 s20, s[20:21]
	v_mov_b32_e32 v50, s20
	buffer_wbl2
	s_waitcnt vmcnt(0)
	global_atomic_add_x2 v[0:1], v[50:51], off offset:8
.LBB3_1260:                             ;   in Loop: Header=BB3_3 Depth=1
	s_or_b64 exec, exec, s[18:19]
	s_waitcnt vmcnt(0)
	global_load_dwordx2 v[2:3], v[0:1], off offset:16
	s_waitcnt vmcnt(0)
	v_cmp_eq_u64_e32 vcc, 0, v[2:3]
	s_cbranch_vccnz .LBB3_1262
; %bb.1261:                             ;   in Loop: Header=BB3_3 Depth=1
	global_load_dword v50, v[0:1], off offset:24
	s_waitcnt vmcnt(0)
	v_and_b32_e32 v0, 0xffffff, v50
	v_readfirstlane_b32 m0, v0
	buffer_wbl2
	global_store_dwordx2 v[2:3], v[50:51], off
	s_sendmsg sendmsg(MSG_INTERRUPT)
.LBB3_1262:                             ;   in Loop: Header=BB3_3 Depth=1
	s_or_b64 exec, exec, s[16:17]
	v_add_co_u32_e32 v0, vcc, v8, v27
	v_addc_co_u32_e32 v1, vcc, 0, v9, vcc
	s_branch .LBB3_1266
.LBB3_1263:                             ;   in Loop: Header=BB3_1266 Depth=2
	s_or_b64 exec, exec, s[16:17]
	v_readfirstlane_b32 s16, v2
	s_cmp_eq_u32 s16, 0
	s_cbranch_scc1 .LBB3_1265
; %bb.1264:                             ;   in Loop: Header=BB3_1266 Depth=2
	s_sleep 1
	s_cbranch_execnz .LBB3_1266
	s_branch .LBB3_1268
.LBB3_1265:                             ;   in Loop: Header=BB3_3 Depth=1
	s_branch .LBB3_1268
.LBB3_1266:                             ;   Parent Loop BB3_3 Depth=1
                                        ; =>  This Inner Loop Header: Depth=2
	v_mov_b32_e32 v2, 1
	s_and_saveexec_b64 s[16:17], s[4:5]
	s_cbranch_execz .LBB3_1263
; %bb.1267:                             ;   in Loop: Header=BB3_1266 Depth=2
	global_load_dword v2, v[10:11], off offset:20 glc
	s_waitcnt vmcnt(0)
	buffer_invl2
	buffer_wbinvl1_vol
	v_and_b32_e32 v2, 1, v2
	s_branch .LBB3_1263
.LBB3_1268:                             ;   in Loop: Header=BB3_3 Depth=1
	global_load_dwordx2 v[4:5], v[0:1], off
	s_and_saveexec_b64 s[16:17], s[4:5]
	s_cbranch_execz .LBB3_1272
; %bb.1269:                             ;   in Loop: Header=BB3_3 Depth=1
	global_load_dwordx2 v[6:7], v51, s[12:13] offset:40
	global_load_dwordx2 v[8:9], v51, s[12:13] offset:24 glc
	global_load_dwordx2 v[10:11], v51, s[12:13]
	v_mov_b32_e32 v1, s15
	s_waitcnt vmcnt(2)
	v_add_co_u32_e32 v3, vcc, 1, v6
	v_addc_co_u32_e32 v12, vcc, 0, v7, vcc
	v_add_co_u32_e32 v0, vcc, s14, v3
	v_addc_co_u32_e32 v1, vcc, v12, v1, vcc
	v_cmp_eq_u64_e32 vcc, 0, v[0:1]
	v_cndmask_b32_e32 v1, v1, v12, vcc
	v_cndmask_b32_e32 v0, v0, v3, vcc
	v_and_b32_e32 v3, v1, v7
	v_and_b32_e32 v6, v0, v6
	v_mul_lo_u32 v3, v3, 24
	v_mul_hi_u32 v7, v6, 24
	v_mul_lo_u32 v6, v6, 24
	v_add_u32_e32 v3, v7, v3
	s_waitcnt vmcnt(0)
	v_add_co_u32_e32 v6, vcc, v10, v6
	v_addc_co_u32_e32 v7, vcc, v11, v3, vcc
	v_mov_b32_e32 v2, v8
	global_store_dwordx2 v[6:7], v[8:9], off
	v_mov_b32_e32 v3, v9
	buffer_wbl2
	s_waitcnt vmcnt(0)
	global_atomic_cmpswap_x2 v[2:3], v51, v[0:3], s[12:13] offset:24 glc
	s_waitcnt vmcnt(0)
	v_cmp_ne_u64_e32 vcc, v[2:3], v[8:9]
	s_and_b64 exec, exec, vcc
	s_cbranch_execz .LBB3_1272
; %bb.1270:                             ;   in Loop: Header=BB3_3 Depth=1
	s_mov_b64 s[4:5], 0
.LBB3_1271:                             ;   Parent Loop BB3_3 Depth=1
                                        ; =>  This Inner Loop Header: Depth=2
	s_sleep 1
	global_store_dwordx2 v[6:7], v[2:3], off
	buffer_wbl2
	s_waitcnt vmcnt(0)
	global_atomic_cmpswap_x2 v[8:9], v51, v[0:3], s[12:13] offset:24 glc
	s_waitcnt vmcnt(0)
	v_cmp_eq_u64_e32 vcc, v[8:9], v[2:3]
	s_or_b64 s[4:5], vcc, s[4:5]
	v_pk_mov_b32 v[2:3], v[8:9], v[8:9] op_sel:[0,1]
	s_andn2_b64 exec, exec, s[4:5]
	s_cbranch_execnz .LBB3_1271
.LBB3_1272:                             ;   in Loop: Header=BB3_3 Depth=1
	s_or_b64 exec, exec, s[16:17]
	v_readfirstlane_b32 s4, v57
	v_cmp_eq_u32_e64 s[4:5], s4, v57
	v_pk_mov_b32 v[6:7], 0, 0
	s_and_saveexec_b64 s[14:15], s[4:5]
	s_cbranch_execz .LBB3_1278
; %bb.1273:                             ;   in Loop: Header=BB3_3 Depth=1
	global_load_dwordx2 v[2:3], v51, s[12:13] offset:24 glc
	s_waitcnt vmcnt(0)
	buffer_invl2
	buffer_wbinvl1_vol
	global_load_dwordx2 v[0:1], v51, s[12:13] offset:40
	global_load_dwordx2 v[6:7], v51, s[12:13]
	s_waitcnt vmcnt(1)
	v_and_b32_e32 v0, v0, v2
	v_and_b32_e32 v1, v1, v3
	v_mul_lo_u32 v1, v1, 24
	v_mul_hi_u32 v8, v0, 24
	v_mul_lo_u32 v0, v0, 24
	v_add_u32_e32 v1, v8, v1
	s_waitcnt vmcnt(0)
	v_add_co_u32_e32 v0, vcc, v6, v0
	v_addc_co_u32_e32 v1, vcc, v7, v1, vcc
	global_load_dwordx2 v[0:1], v[0:1], off glc
	s_waitcnt vmcnt(0)
	global_atomic_cmpswap_x2 v[6:7], v51, v[0:3], s[12:13] offset:24 glc
	s_waitcnt vmcnt(0)
	buffer_invl2
	buffer_wbinvl1_vol
	v_cmp_ne_u64_e32 vcc, v[6:7], v[2:3]
	s_and_saveexec_b64 s[16:17], vcc
	s_cbranch_execz .LBB3_1277
; %bb.1274:                             ;   in Loop: Header=BB3_3 Depth=1
	s_mov_b64 s[18:19], 0
.LBB3_1275:                             ;   Parent Loop BB3_3 Depth=1
                                        ; =>  This Inner Loop Header: Depth=2
	s_sleep 1
	global_load_dwordx2 v[0:1], v51, s[12:13] offset:40
	global_load_dwordx2 v[8:9], v51, s[12:13]
	v_pk_mov_b32 v[2:3], v[6:7], v[6:7] op_sel:[0,1]
	s_waitcnt vmcnt(1)
	v_and_b32_e32 v0, v0, v2
	v_and_b32_e32 v7, v1, v3
	s_waitcnt vmcnt(0)
	v_mad_u64_u32 v[0:1], s[20:21], v0, 24, v[8:9]
	v_mov_b32_e32 v6, v1
	v_mad_u64_u32 v[6:7], s[20:21], v7, 24, v[6:7]
	v_mov_b32_e32 v1, v6
	global_load_dwordx2 v[0:1], v[0:1], off glc
	s_waitcnt vmcnt(0)
	global_atomic_cmpswap_x2 v[6:7], v51, v[0:3], s[12:13] offset:24 glc
	s_waitcnt vmcnt(0)
	buffer_invl2
	buffer_wbinvl1_vol
	v_cmp_eq_u64_e32 vcc, v[6:7], v[2:3]
	s_or_b64 s[18:19], vcc, s[18:19]
	s_andn2_b64 exec, exec, s[18:19]
	s_cbranch_execnz .LBB3_1275
; %bb.1276:                             ;   in Loop: Header=BB3_3 Depth=1
	s_or_b64 exec, exec, s[18:19]
.LBB3_1277:                             ;   in Loop: Header=BB3_3 Depth=1
	s_or_b64 exec, exec, s[16:17]
.LBB3_1278:                             ;   in Loop: Header=BB3_3 Depth=1
	s_or_b64 exec, exec, s[14:15]
	global_load_dwordx2 v[8:9], v51, s[12:13] offset:40
	global_load_dwordx4 v[0:3], v51, s[12:13]
	v_readfirstlane_b32 s14, v6
	v_readfirstlane_b32 s15, v7
	s_mov_b64 s[16:17], exec
	s_waitcnt vmcnt(1)
	v_readfirstlane_b32 s18, v8
	v_readfirstlane_b32 s19, v9
	s_and_b64 s[18:19], s[14:15], s[18:19]
	s_mul_i32 s20, s19, 24
	s_mul_hi_u32 s21, s18, 24
	s_mul_i32 s22, s18, 24
	s_add_i32 s20, s21, s20
	v_mov_b32_e32 v6, s20
	s_waitcnt vmcnt(0)
	v_add_co_u32_e32 v8, vcc, s22, v0
	v_addc_co_u32_e32 v9, vcc, v1, v6, vcc
	s_and_saveexec_b64 s[20:21], s[4:5]
	s_cbranch_execz .LBB3_1280
; %bb.1279:                             ;   in Loop: Header=BB3_3 Depth=1
	v_pk_mov_b32 v[40:41], s[16:17], s[16:17] op_sel:[0,1]
	global_store_dwordx4 v[8:9], v[40:43], off offset:8
.LBB3_1280:                             ;   in Loop: Header=BB3_3 Depth=1
	s_or_b64 exec, exec, s[20:21]
	s_lshl_b64 s[16:17], s[18:19], 12
	v_mov_b32_e32 v6, s17
	v_add_co_u32_e32 v10, vcc, s16, v2
	v_addc_co_u32_e32 v3, vcc, v3, v6, vcc
	v_mul_lo_u32 v2, v28, v26
	v_and_or_b32 v4, v4, s71, 32
	v_mov_b32_e32 v6, v2
	v_mov_b32_e32 v7, v51
	v_readfirstlane_b32 s16, v10
	v_readfirstlane_b32 s17, v3
	s_mov_b32 s29, s28
	s_mov_b32 s30, s28
	;; [unrolled: 1-line block ×3, first 2 shown]
	s_nop 1
	global_store_dwordx4 v27, v[4:7], s[16:17]
	s_nop 0
	v_pk_mov_b32 v[4:5], s[28:29], s[28:29] op_sel:[0,1]
	v_pk_mov_b32 v[6:7], s[30:31], s[30:31] op_sel:[0,1]
	global_store_dwordx4 v27, v[4:7], s[16:17] offset:16
	global_store_dwordx4 v27, v[4:7], s[16:17] offset:32
	;; [unrolled: 1-line block ×3, first 2 shown]
	s_and_saveexec_b64 s[16:17], s[4:5]
	s_cbranch_execz .LBB3_1288
; %bb.1281:                             ;   in Loop: Header=BB3_3 Depth=1
	global_load_dwordx2 v[14:15], v51, s[12:13] offset:32 glc
	global_load_dwordx2 v[4:5], v51, s[12:13] offset:40
	v_mov_b32_e32 v12, s14
	v_mov_b32_e32 v13, s15
	s_waitcnt vmcnt(0)
	v_readfirstlane_b32 s18, v4
	v_readfirstlane_b32 s19, v5
	s_and_b64 s[18:19], s[18:19], s[14:15]
	s_mul_i32 s19, s19, 24
	s_mul_hi_u32 s20, s18, 24
	s_mul_i32 s18, s18, 24
	s_add_i32 s19, s20, s19
	v_mov_b32_e32 v4, s19
	v_add_co_u32_e32 v0, vcc, s18, v0
	v_addc_co_u32_e32 v1, vcc, v1, v4, vcc
	global_store_dwordx2 v[0:1], v[14:15], off
	buffer_wbl2
	s_waitcnt vmcnt(0)
	global_atomic_cmpswap_x2 v[6:7], v51, v[12:15], s[12:13] offset:32 glc
	s_waitcnt vmcnt(0)
	v_cmp_ne_u64_e32 vcc, v[6:7], v[14:15]
	s_and_saveexec_b64 s[18:19], vcc
	s_cbranch_execz .LBB3_1284
; %bb.1282:                             ;   in Loop: Header=BB3_3 Depth=1
	s_mov_b64 s[20:21], 0
.LBB3_1283:                             ;   Parent Loop BB3_3 Depth=1
                                        ; =>  This Inner Loop Header: Depth=2
	s_sleep 1
	global_store_dwordx2 v[0:1], v[6:7], off
	v_mov_b32_e32 v4, s14
	v_mov_b32_e32 v5, s15
	buffer_wbl2
	s_waitcnt vmcnt(0)
	global_atomic_cmpswap_x2 v[4:5], v51, v[4:7], s[12:13] offset:32 glc
	s_waitcnt vmcnt(0)
	v_cmp_eq_u64_e32 vcc, v[4:5], v[6:7]
	s_or_b64 s[20:21], vcc, s[20:21]
	v_pk_mov_b32 v[6:7], v[4:5], v[4:5] op_sel:[0,1]
	s_andn2_b64 exec, exec, s[20:21]
	s_cbranch_execnz .LBB3_1283
.LBB3_1284:                             ;   in Loop: Header=BB3_3 Depth=1
	s_or_b64 exec, exec, s[18:19]
	global_load_dwordx2 v[0:1], v51, s[12:13] offset:16
	s_mov_b64 s[20:21], exec
	v_mbcnt_lo_u32_b32 v4, s20, 0
	v_mbcnt_hi_u32_b32 v4, s21, v4
	v_cmp_eq_u32_e32 vcc, 0, v4
	s_and_saveexec_b64 s[18:19], vcc
	s_cbranch_execz .LBB3_1286
; %bb.1285:                             ;   in Loop: Header=BB3_3 Depth=1
	s_bcnt1_i32_b64 s20, s[20:21]
	v_mov_b32_e32 v4, s20
	v_mov_b32_e32 v5, v51
	buffer_wbl2
	s_waitcnt vmcnt(0)
	global_atomic_add_x2 v[0:1], v[4:5], off offset:8
.LBB3_1286:                             ;   in Loop: Header=BB3_3 Depth=1
	s_or_b64 exec, exec, s[18:19]
	s_waitcnt vmcnt(0)
	global_load_dwordx2 v[4:5], v[0:1], off offset:16
	s_waitcnt vmcnt(0)
	v_cmp_eq_u64_e32 vcc, 0, v[4:5]
	s_cbranch_vccnz .LBB3_1288
; %bb.1287:                             ;   in Loop: Header=BB3_3 Depth=1
	global_load_dword v0, v[0:1], off offset:24
	v_mov_b32_e32 v1, v51
	buffer_wbl2
	s_waitcnt vmcnt(0)
	global_store_dwordx2 v[4:5], v[0:1], off
	v_and_b32_e32 v0, 0xffffff, v0
	v_readfirstlane_b32 m0, v0
	s_sendmsg sendmsg(MSG_INTERRUPT)
.LBB3_1288:                             ;   in Loop: Header=BB3_3 Depth=1
	s_or_b64 exec, exec, s[16:17]
	v_add_co_u32_e32 v0, vcc, v10, v27
	v_addc_co_u32_e32 v1, vcc, 0, v3, vcc
	s_branch .LBB3_1292
.LBB3_1289:                             ;   in Loop: Header=BB3_1292 Depth=2
	s_or_b64 exec, exec, s[16:17]
	v_readfirstlane_b32 s16, v3
	s_cmp_eq_u32 s16, 0
	s_cbranch_scc1 .LBB3_1291
; %bb.1290:                             ;   in Loop: Header=BB3_1292 Depth=2
	s_sleep 1
	s_cbranch_execnz .LBB3_1292
	s_branch .LBB3_1294
.LBB3_1291:                             ;   in Loop: Header=BB3_3 Depth=1
	s_branch .LBB3_1294
.LBB3_1292:                             ;   Parent Loop BB3_3 Depth=1
                                        ; =>  This Inner Loop Header: Depth=2
	v_mov_b32_e32 v3, 1
	s_and_saveexec_b64 s[16:17], s[4:5]
	s_cbranch_execz .LBB3_1289
; %bb.1293:                             ;   in Loop: Header=BB3_1292 Depth=2
	global_load_dword v3, v[8:9], off offset:20 glc
	s_waitcnt vmcnt(0)
	buffer_invl2
	buffer_wbinvl1_vol
	v_and_b32_e32 v3, 1, v3
	s_branch .LBB3_1289
.LBB3_1294:                             ;   in Loop: Header=BB3_3 Depth=1
	global_load_dwordx2 v[0:1], v[0:1], off
	s_and_saveexec_b64 s[16:17], s[4:5]
	s_cbranch_execz .LBB3_1298
; %bb.1295:                             ;   in Loop: Header=BB3_3 Depth=1
	global_load_dwordx2 v[8:9], v51, s[12:13] offset:40
	global_load_dwordx2 v[10:11], v51, s[12:13] offset:24 glc
	global_load_dwordx2 v[12:13], v51, s[12:13]
	v_mov_b32_e32 v3, s15
	s_waitcnt vmcnt(2)
	v_add_co_u32_e32 v7, vcc, 1, v8
	v_addc_co_u32_e32 v14, vcc, 0, v9, vcc
	v_add_co_u32_e32 v4, vcc, s14, v7
	v_addc_co_u32_e32 v5, vcc, v14, v3, vcc
	v_cmp_eq_u64_e32 vcc, 0, v[4:5]
	v_cndmask_b32_e32 v5, v5, v14, vcc
	v_cndmask_b32_e32 v4, v4, v7, vcc
	v_and_b32_e32 v3, v5, v9
	v_and_b32_e32 v7, v4, v8
	v_mul_lo_u32 v3, v3, 24
	v_mul_hi_u32 v8, v7, 24
	v_mul_lo_u32 v7, v7, 24
	v_add_u32_e32 v3, v8, v3
	s_waitcnt vmcnt(0)
	v_add_co_u32_e32 v8, vcc, v12, v7
	v_addc_co_u32_e32 v9, vcc, v13, v3, vcc
	v_mov_b32_e32 v6, v10
	global_store_dwordx2 v[8:9], v[10:11], off
	v_mov_b32_e32 v7, v11
	buffer_wbl2
	s_waitcnt vmcnt(0)
	global_atomic_cmpswap_x2 v[6:7], v51, v[4:7], s[12:13] offset:24 glc
	s_waitcnt vmcnt(0)
	v_cmp_ne_u64_e32 vcc, v[6:7], v[10:11]
	s_and_b64 exec, exec, vcc
	s_cbranch_execz .LBB3_1298
; %bb.1296:                             ;   in Loop: Header=BB3_3 Depth=1
	s_mov_b64 s[4:5], 0
.LBB3_1297:                             ;   Parent Loop BB3_3 Depth=1
                                        ; =>  This Inner Loop Header: Depth=2
	s_sleep 1
	global_store_dwordx2 v[8:9], v[6:7], off
	buffer_wbl2
	s_waitcnt vmcnt(0)
	global_atomic_cmpswap_x2 v[10:11], v51, v[4:7], s[12:13] offset:24 glc
	s_waitcnt vmcnt(0)
	v_cmp_eq_u64_e32 vcc, v[10:11], v[6:7]
	s_or_b64 s[4:5], vcc, s[4:5]
	v_pk_mov_b32 v[6:7], v[10:11], v[10:11] op_sel:[0,1]
	s_andn2_b64 exec, exec, s[4:5]
	s_cbranch_execnz .LBB3_1297
.LBB3_1298:                             ;   in Loop: Header=BB3_3 Depth=1
	s_or_b64 exec, exec, s[16:17]
	v_readfirstlane_b32 s4, v57
	v_cmp_eq_u32_e64 s[4:5], s4, v57
	v_pk_mov_b32 v[8:9], 0, 0
	s_and_saveexec_b64 s[14:15], s[4:5]
	s_cbranch_execz .LBB3_1304
; %bb.1299:                             ;   in Loop: Header=BB3_3 Depth=1
	global_load_dwordx2 v[6:7], v51, s[12:13] offset:24 glc
	s_waitcnt vmcnt(0)
	buffer_invl2
	buffer_wbinvl1_vol
	global_load_dwordx2 v[4:5], v51, s[12:13] offset:40
	global_load_dwordx2 v[8:9], v51, s[12:13]
	s_waitcnt vmcnt(1)
	v_and_b32_e32 v3, v4, v6
	v_and_b32_e32 v4, v5, v7
	v_mul_lo_u32 v4, v4, 24
	v_mul_hi_u32 v5, v3, 24
	v_mul_lo_u32 v3, v3, 24
	v_add_u32_e32 v5, v5, v4
	s_waitcnt vmcnt(0)
	v_add_co_u32_e32 v4, vcc, v8, v3
	v_addc_co_u32_e32 v5, vcc, v9, v5, vcc
	global_load_dwordx2 v[4:5], v[4:5], off glc
	s_waitcnt vmcnt(0)
	global_atomic_cmpswap_x2 v[8:9], v51, v[4:7], s[12:13] offset:24 glc
	s_waitcnt vmcnt(0)
	buffer_invl2
	buffer_wbinvl1_vol
	v_cmp_ne_u64_e32 vcc, v[8:9], v[6:7]
	s_and_saveexec_b64 s[16:17], vcc
	s_cbranch_execz .LBB3_1303
; %bb.1300:                             ;   in Loop: Header=BB3_3 Depth=1
	s_mov_b64 s[18:19], 0
.LBB3_1301:                             ;   Parent Loop BB3_3 Depth=1
                                        ; =>  This Inner Loop Header: Depth=2
	s_sleep 1
	global_load_dwordx2 v[4:5], v51, s[12:13] offset:40
	global_load_dwordx2 v[10:11], v51, s[12:13]
	v_pk_mov_b32 v[6:7], v[8:9], v[8:9] op_sel:[0,1]
	s_waitcnt vmcnt(1)
	v_and_b32_e32 v4, v4, v6
	v_and_b32_e32 v3, v5, v7
	s_waitcnt vmcnt(0)
	v_mad_u64_u32 v[4:5], s[20:21], v4, 24, v[10:11]
	v_mov_b32_e32 v8, v5
	v_mad_u64_u32 v[8:9], s[20:21], v3, 24, v[8:9]
	v_mov_b32_e32 v5, v8
	global_load_dwordx2 v[4:5], v[4:5], off glc
	s_waitcnt vmcnt(0)
	global_atomic_cmpswap_x2 v[8:9], v51, v[4:7], s[12:13] offset:24 glc
	s_waitcnt vmcnt(0)
	buffer_invl2
	buffer_wbinvl1_vol
	v_cmp_eq_u64_e32 vcc, v[8:9], v[6:7]
	s_or_b64 s[18:19], vcc, s[18:19]
	s_andn2_b64 exec, exec, s[18:19]
	s_cbranch_execnz .LBB3_1301
; %bb.1302:                             ;   in Loop: Header=BB3_3 Depth=1
	s_or_b64 exec, exec, s[18:19]
.LBB3_1303:                             ;   in Loop: Header=BB3_3 Depth=1
	s_or_b64 exec, exec, s[16:17]
.LBB3_1304:                             ;   in Loop: Header=BB3_3 Depth=1
	s_or_b64 exec, exec, s[14:15]
	global_load_dwordx2 v[10:11], v51, s[12:13] offset:40
	global_load_dwordx4 v[4:7], v51, s[12:13]
	v_readfirstlane_b32 s14, v8
	v_readfirstlane_b32 s15, v9
	s_mov_b64 s[16:17], exec
	s_waitcnt vmcnt(1)
	v_readfirstlane_b32 s18, v10
	v_readfirstlane_b32 s19, v11
	s_and_b64 s[18:19], s[14:15], s[18:19]
	s_mul_i32 s20, s19, 24
	s_mul_hi_u32 s21, s18, 24
	s_mul_i32 s22, s18, 24
	s_add_i32 s20, s21, s20
	v_mov_b32_e32 v3, s20
	s_waitcnt vmcnt(0)
	v_add_co_u32_e32 v8, vcc, s22, v4
	v_addc_co_u32_e32 v9, vcc, v5, v3, vcc
	s_and_saveexec_b64 s[20:21], s[4:5]
	s_cbranch_execz .LBB3_1306
; %bb.1305:                             ;   in Loop: Header=BB3_3 Depth=1
	v_pk_mov_b32 v[40:41], s[16:17], s[16:17] op_sel:[0,1]
	global_store_dwordx4 v[8:9], v[40:43], off offset:8
.LBB3_1306:                             ;   in Loop: Header=BB3_3 Depth=1
	s_or_b64 exec, exec, s[20:21]
	s_lshl_b64 s[16:17], s[18:19], 12
	v_mov_b32_e32 v3, s17
	v_add_co_u32_e32 v6, vcc, s16, v6
	v_addc_co_u32_e32 v7, vcc, v7, v3, vcc
	v_and_or_b32 v0, v0, s72, 34
	v_mov_b32_e32 v3, v51
	v_readfirstlane_b32 s16, v6
	v_readfirstlane_b32 s17, v7
	s_mov_b32 s29, s28
	s_mov_b32 s30, s28
	;; [unrolled: 1-line block ×3, first 2 shown]
	s_nop 1
	global_store_dwordx4 v27, v[0:3], s[16:17]
	s_nop 0
	v_pk_mov_b32 v[0:1], s[28:29], s[28:29] op_sel:[0,1]
	v_pk_mov_b32 v[2:3], s[30:31], s[30:31] op_sel:[0,1]
	global_store_dwordx4 v27, v[0:3], s[16:17] offset:16
	global_store_dwordx4 v27, v[0:3], s[16:17] offset:32
	;; [unrolled: 1-line block ×3, first 2 shown]
	s_and_saveexec_b64 s[16:17], s[4:5]
	s_cbranch_execz .LBB3_1314
; %bb.1307:                             ;   in Loop: Header=BB3_3 Depth=1
	global_load_dwordx2 v[12:13], v51, s[12:13] offset:32 glc
	global_load_dwordx2 v[0:1], v51, s[12:13] offset:40
	v_mov_b32_e32 v10, s14
	v_mov_b32_e32 v11, s15
	s_waitcnt vmcnt(0)
	v_readfirstlane_b32 s18, v0
	v_readfirstlane_b32 s19, v1
	s_and_b64 s[18:19], s[18:19], s[14:15]
	s_mul_i32 s19, s19, 24
	s_mul_hi_u32 s20, s18, 24
	s_mul_i32 s18, s18, 24
	s_add_i32 s19, s20, s19
	v_mov_b32_e32 v0, s19
	v_add_co_u32_e32 v4, vcc, s18, v4
	v_addc_co_u32_e32 v5, vcc, v5, v0, vcc
	global_store_dwordx2 v[4:5], v[12:13], off
	buffer_wbl2
	s_waitcnt vmcnt(0)
	global_atomic_cmpswap_x2 v[2:3], v51, v[10:13], s[12:13] offset:32 glc
	s_waitcnt vmcnt(0)
	v_cmp_ne_u64_e32 vcc, v[2:3], v[12:13]
	s_and_saveexec_b64 s[18:19], vcc
	s_cbranch_execz .LBB3_1310
; %bb.1308:                             ;   in Loop: Header=BB3_3 Depth=1
	s_mov_b64 s[20:21], 0
.LBB3_1309:                             ;   Parent Loop BB3_3 Depth=1
                                        ; =>  This Inner Loop Header: Depth=2
	s_sleep 1
	global_store_dwordx2 v[4:5], v[2:3], off
	v_mov_b32_e32 v0, s14
	v_mov_b32_e32 v1, s15
	buffer_wbl2
	s_waitcnt vmcnt(0)
	global_atomic_cmpswap_x2 v[0:1], v51, v[0:3], s[12:13] offset:32 glc
	s_waitcnt vmcnt(0)
	v_cmp_eq_u64_e32 vcc, v[0:1], v[2:3]
	s_or_b64 s[20:21], vcc, s[20:21]
	v_pk_mov_b32 v[2:3], v[0:1], v[0:1] op_sel:[0,1]
	s_andn2_b64 exec, exec, s[20:21]
	s_cbranch_execnz .LBB3_1309
.LBB3_1310:                             ;   in Loop: Header=BB3_3 Depth=1
	s_or_b64 exec, exec, s[18:19]
	global_load_dwordx2 v[0:1], v51, s[12:13] offset:16
	s_mov_b64 s[20:21], exec
	v_mbcnt_lo_u32_b32 v2, s20, 0
	v_mbcnt_hi_u32_b32 v2, s21, v2
	v_cmp_eq_u32_e32 vcc, 0, v2
	s_and_saveexec_b64 s[18:19], vcc
	s_cbranch_execz .LBB3_1312
; %bb.1311:                             ;   in Loop: Header=BB3_3 Depth=1
	s_bcnt1_i32_b64 s20, s[20:21]
	v_mov_b32_e32 v50, s20
	buffer_wbl2
	s_waitcnt vmcnt(0)
	global_atomic_add_x2 v[0:1], v[50:51], off offset:8
.LBB3_1312:                             ;   in Loop: Header=BB3_3 Depth=1
	s_or_b64 exec, exec, s[18:19]
	s_waitcnt vmcnt(0)
	global_load_dwordx2 v[2:3], v[0:1], off offset:16
	s_waitcnt vmcnt(0)
	v_cmp_eq_u64_e32 vcc, 0, v[2:3]
	s_cbranch_vccnz .LBB3_1314
; %bb.1313:                             ;   in Loop: Header=BB3_3 Depth=1
	global_load_dword v50, v[0:1], off offset:24
	s_waitcnt vmcnt(0)
	v_and_b32_e32 v0, 0xffffff, v50
	v_readfirstlane_b32 m0, v0
	buffer_wbl2
	global_store_dwordx2 v[2:3], v[50:51], off
	s_sendmsg sendmsg(MSG_INTERRUPT)
.LBB3_1314:                             ;   in Loop: Header=BB3_3 Depth=1
	s_or_b64 exec, exec, s[16:17]
	v_add_co_u32_e32 v0, vcc, v6, v27
	v_addc_co_u32_e32 v1, vcc, 0, v7, vcc
	s_branch .LBB3_1318
.LBB3_1315:                             ;   in Loop: Header=BB3_1318 Depth=2
	s_or_b64 exec, exec, s[16:17]
	v_readfirstlane_b32 s16, v2
	s_cmp_eq_u32 s16, 0
	s_cbranch_scc1 .LBB3_1317
; %bb.1316:                             ;   in Loop: Header=BB3_1318 Depth=2
	s_sleep 1
	s_cbranch_execnz .LBB3_1318
	s_branch .LBB3_1320
.LBB3_1317:                             ;   in Loop: Header=BB3_3 Depth=1
	s_branch .LBB3_1320
.LBB3_1318:                             ;   Parent Loop BB3_3 Depth=1
                                        ; =>  This Inner Loop Header: Depth=2
	v_mov_b32_e32 v2, 1
	s_and_saveexec_b64 s[16:17], s[4:5]
	s_cbranch_execz .LBB3_1315
; %bb.1319:                             ;   in Loop: Header=BB3_1318 Depth=2
	global_load_dword v2, v[8:9], off offset:20 glc
	s_waitcnt vmcnt(0)
	buffer_invl2
	buffer_wbinvl1_vol
	v_and_b32_e32 v2, 1, v2
	s_branch .LBB3_1315
.LBB3_1320:                             ;   in Loop: Header=BB3_3 Depth=1
	global_load_dwordx2 v[0:1], v[0:1], off
	s_and_saveexec_b64 s[16:17], s[4:5]
	s_cbranch_execz .LBB3_1324
; %bb.1321:                             ;   in Loop: Header=BB3_3 Depth=1
	global_load_dwordx2 v[6:7], v51, s[12:13] offset:40
	global_load_dwordx2 v[8:9], v51, s[12:13] offset:24 glc
	global_load_dwordx2 v[10:11], v51, s[12:13]
	s_waitcnt vmcnt(3)
	v_mov_b32_e32 v1, s15
	s_waitcnt vmcnt(2)
	v_add_co_u32_e32 v5, vcc, 1, v6
	v_addc_co_u32_e32 v12, vcc, 0, v7, vcc
	v_add_co_u32_e32 v2, vcc, s14, v5
	v_addc_co_u32_e32 v3, vcc, v12, v1, vcc
	v_cmp_eq_u64_e32 vcc, 0, v[2:3]
	v_cndmask_b32_e32 v3, v3, v12, vcc
	v_cndmask_b32_e32 v2, v2, v5, vcc
	v_and_b32_e32 v1, v3, v7
	v_and_b32_e32 v5, v2, v6
	v_mul_lo_u32 v1, v1, 24
	v_mul_hi_u32 v6, v5, 24
	v_mul_lo_u32 v5, v5, 24
	v_add_u32_e32 v1, v6, v1
	s_waitcnt vmcnt(0)
	v_add_co_u32_e32 v6, vcc, v10, v5
	v_addc_co_u32_e32 v7, vcc, v11, v1, vcc
	v_mov_b32_e32 v4, v8
	global_store_dwordx2 v[6:7], v[8:9], off
	v_mov_b32_e32 v5, v9
	buffer_wbl2
	s_waitcnt vmcnt(0)
	global_atomic_cmpswap_x2 v[4:5], v51, v[2:5], s[12:13] offset:24 glc
	s_waitcnt vmcnt(0)
	v_cmp_ne_u64_e32 vcc, v[4:5], v[8:9]
	s_and_b64 exec, exec, vcc
	s_cbranch_execz .LBB3_1324
; %bb.1322:                             ;   in Loop: Header=BB3_3 Depth=1
	s_mov_b64 s[4:5], 0
.LBB3_1323:                             ;   Parent Loop BB3_3 Depth=1
                                        ; =>  This Inner Loop Header: Depth=2
	s_sleep 1
	global_store_dwordx2 v[6:7], v[4:5], off
	buffer_wbl2
	s_waitcnt vmcnt(0)
	global_atomic_cmpswap_x2 v[8:9], v51, v[2:5], s[12:13] offset:24 glc
	s_waitcnt vmcnt(0)
	v_cmp_eq_u64_e32 vcc, v[8:9], v[4:5]
	s_or_b64 s[4:5], vcc, s[4:5]
	v_pk_mov_b32 v[4:5], v[8:9], v[8:9] op_sel:[0,1]
	s_andn2_b64 exec, exec, s[4:5]
	s_cbranch_execnz .LBB3_1323
.LBB3_1324:                             ;   in Loop: Header=BB3_3 Depth=1
	s_or_b64 exec, exec, s[16:17]
                                        ; implicit-def: $vgpr26
.LBB3_1325:                             ;   in Loop: Header=BB3_3 Depth=1
	s_andn2_saveexec_b64 s[10:11], s[10:11]
	s_cbranch_execz .LBB3_1544
; %bb.1326:                             ;   in Loop: Header=BB3_3 Depth=1
	flat_load_dword v28, v[46:47]
	s_load_dwordx2 s[12:13], s[26:27], 0x50
	v_readfirstlane_b32 s4, v57
	v_cmp_eq_u32_e64 s[4:5], s4, v57
	v_pk_mov_b32 v[4:5], 0, 0
	s_and_saveexec_b64 s[14:15], s[4:5]
	s_cbranch_execz .LBB3_1332
; %bb.1327:                             ;   in Loop: Header=BB3_3 Depth=1
	s_waitcnt lgkmcnt(0)
	global_load_dwordx2 v[2:3], v51, s[12:13] offset:24 glc
	s_waitcnt vmcnt(0)
	buffer_invl2
	buffer_wbinvl1_vol
	global_load_dwordx2 v[0:1], v51, s[12:13] offset:40
	global_load_dwordx2 v[4:5], v51, s[12:13]
	s_waitcnt vmcnt(1)
	v_and_b32_e32 v0, v0, v2
	v_and_b32_e32 v1, v1, v3
	v_mul_lo_u32 v1, v1, 24
	v_mul_hi_u32 v6, v0, 24
	v_mul_lo_u32 v0, v0, 24
	v_add_u32_e32 v1, v6, v1
	s_waitcnt vmcnt(0)
	v_add_co_u32_e32 v0, vcc, v4, v0
	v_addc_co_u32_e32 v1, vcc, v5, v1, vcc
	global_load_dwordx2 v[0:1], v[0:1], off glc
	s_waitcnt vmcnt(0)
	global_atomic_cmpswap_x2 v[4:5], v51, v[0:3], s[12:13] offset:24 glc
	s_waitcnt vmcnt(0)
	buffer_invl2
	buffer_wbinvl1_vol
	v_cmp_ne_u64_e32 vcc, v[4:5], v[2:3]
	s_and_saveexec_b64 s[16:17], vcc
	s_cbranch_execz .LBB3_1331
; %bb.1328:                             ;   in Loop: Header=BB3_3 Depth=1
	s_mov_b64 s[18:19], 0
.LBB3_1329:                             ;   Parent Loop BB3_3 Depth=1
                                        ; =>  This Inner Loop Header: Depth=2
	s_sleep 1
	global_load_dwordx2 v[0:1], v51, s[12:13] offset:40
	global_load_dwordx2 v[6:7], v51, s[12:13]
	v_pk_mov_b32 v[2:3], v[4:5], v[4:5] op_sel:[0,1]
	s_waitcnt vmcnt(1)
	v_and_b32_e32 v0, v0, v2
	v_and_b32_e32 v5, v1, v3
	s_waitcnt vmcnt(0)
	v_mad_u64_u32 v[0:1], s[20:21], v0, 24, v[6:7]
	v_mov_b32_e32 v4, v1
	v_mad_u64_u32 v[4:5], s[20:21], v5, 24, v[4:5]
	v_mov_b32_e32 v1, v4
	global_load_dwordx2 v[0:1], v[0:1], off glc
	s_waitcnt vmcnt(0)
	global_atomic_cmpswap_x2 v[4:5], v51, v[0:3], s[12:13] offset:24 glc
	s_waitcnt vmcnt(0)
	buffer_invl2
	buffer_wbinvl1_vol
	v_cmp_eq_u64_e32 vcc, v[4:5], v[2:3]
	s_or_b64 s[18:19], vcc, s[18:19]
	s_andn2_b64 exec, exec, s[18:19]
	s_cbranch_execnz .LBB3_1329
; %bb.1330:                             ;   in Loop: Header=BB3_3 Depth=1
	s_or_b64 exec, exec, s[18:19]
.LBB3_1331:                             ;   in Loop: Header=BB3_3 Depth=1
	s_or_b64 exec, exec, s[16:17]
.LBB3_1332:                             ;   in Loop: Header=BB3_3 Depth=1
	s_or_b64 exec, exec, s[14:15]
	s_waitcnt lgkmcnt(0)
	global_load_dwordx2 v[6:7], v51, s[12:13] offset:40
	global_load_dwordx4 v[0:3], v51, s[12:13]
	v_readfirstlane_b32 s14, v4
	v_readfirstlane_b32 s15, v5
	s_mov_b64 s[16:17], exec
	s_waitcnt vmcnt(0)
	v_readfirstlane_b32 s18, v6
	v_readfirstlane_b32 s19, v7
	s_and_b64 s[18:19], s[14:15], s[18:19]
	s_mul_i32 s20, s19, 24
	s_mul_hi_u32 s21, s18, 24
	s_mul_i32 s22, s18, 24
	s_add_i32 s20, s21, s20
	v_mov_b32_e32 v5, s20
	v_add_co_u32_e32 v4, vcc, s22, v0
	v_addc_co_u32_e32 v5, vcc, v1, v5, vcc
	s_and_saveexec_b64 s[20:21], s[4:5]
	s_cbranch_execz .LBB3_1334
; %bb.1333:                             ;   in Loop: Header=BB3_3 Depth=1
	v_pk_mov_b32 v[40:41], s[16:17], s[16:17] op_sel:[0,1]
	global_store_dwordx4 v[4:5], v[40:43], off offset:8
.LBB3_1334:                             ;   in Loop: Header=BB3_3 Depth=1
	s_or_b64 exec, exec, s[20:21]
	s_lshl_b64 s[16:17], s[18:19], 12
	v_mov_b32_e32 v7, s17
	v_add_co_u32_e32 v6, vcc, s16, v2
	s_mov_b32 s29, s28
	v_addc_co_u32_e32 v7, vcc, v3, v7, vcc
	s_mov_b32 s30, s28
	s_mov_b32 s31, s28
	v_pk_mov_b32 v[8:9], s[28:29], s[28:29] op_sel:[0,1]
	v_lshlrev_b32_e32 v27, 6, v57
	v_mov_b32_e32 v49, v51
	v_mov_b32_e32 v50, v51
	v_readfirstlane_b32 s16, v6
	v_readfirstlane_b32 s17, v7
	v_pk_mov_b32 v[10:11], s[30:31], s[30:31] op_sel:[0,1]
	s_nop 3
	global_store_dwordx4 v27, v[48:51], s[16:17]
	global_store_dwordx4 v27, v[8:11], s[16:17] offset:16
	global_store_dwordx4 v27, v[8:11], s[16:17] offset:32
	;; [unrolled: 1-line block ×3, first 2 shown]
	s_and_saveexec_b64 s[16:17], s[4:5]
	s_cbranch_execz .LBB3_1342
; %bb.1335:                             ;   in Loop: Header=BB3_3 Depth=1
	global_load_dwordx2 v[12:13], v51, s[12:13] offset:32 glc
	global_load_dwordx2 v[2:3], v51, s[12:13] offset:40
	v_mov_b32_e32 v10, s14
	v_mov_b32_e32 v11, s15
	s_waitcnt vmcnt(0)
	v_and_b32_e32 v2, s14, v2
	v_and_b32_e32 v3, s15, v3
	v_mul_lo_u32 v3, v3, 24
	v_mul_hi_u32 v8, v2, 24
	v_mul_lo_u32 v2, v2, 24
	v_add_u32_e32 v3, v8, v3
	v_add_co_u32_e32 v8, vcc, v0, v2
	v_addc_co_u32_e32 v9, vcc, v1, v3, vcc
	global_store_dwordx2 v[8:9], v[12:13], off
	buffer_wbl2
	s_waitcnt vmcnt(0)
	global_atomic_cmpswap_x2 v[2:3], v51, v[10:13], s[12:13] offset:32 glc
	s_waitcnt vmcnt(0)
	v_cmp_ne_u64_e32 vcc, v[2:3], v[12:13]
	s_and_saveexec_b64 s[18:19], vcc
	s_cbranch_execz .LBB3_1338
; %bb.1336:                             ;   in Loop: Header=BB3_3 Depth=1
	s_mov_b64 s[20:21], 0
.LBB3_1337:                             ;   Parent Loop BB3_3 Depth=1
                                        ; =>  This Inner Loop Header: Depth=2
	s_sleep 1
	global_store_dwordx2 v[8:9], v[2:3], off
	v_mov_b32_e32 v0, s14
	v_mov_b32_e32 v1, s15
	buffer_wbl2
	s_waitcnt vmcnt(0)
	global_atomic_cmpswap_x2 v[0:1], v51, v[0:3], s[12:13] offset:32 glc
	s_waitcnt vmcnt(0)
	v_cmp_eq_u64_e32 vcc, v[0:1], v[2:3]
	s_or_b64 s[20:21], vcc, s[20:21]
	v_pk_mov_b32 v[2:3], v[0:1], v[0:1] op_sel:[0,1]
	s_andn2_b64 exec, exec, s[20:21]
	s_cbranch_execnz .LBB3_1337
.LBB3_1338:                             ;   in Loop: Header=BB3_3 Depth=1
	s_or_b64 exec, exec, s[18:19]
	global_load_dwordx2 v[0:1], v51, s[12:13] offset:16
	s_mov_b64 s[20:21], exec
	v_mbcnt_lo_u32_b32 v2, s20, 0
	v_mbcnt_hi_u32_b32 v2, s21, v2
	v_cmp_eq_u32_e32 vcc, 0, v2
	s_and_saveexec_b64 s[18:19], vcc
	s_cbranch_execz .LBB3_1340
; %bb.1339:                             ;   in Loop: Header=BB3_3 Depth=1
	s_bcnt1_i32_b64 s20, s[20:21]
	v_mov_b32_e32 v50, s20
	buffer_wbl2
	s_waitcnt vmcnt(0)
	global_atomic_add_x2 v[0:1], v[50:51], off offset:8
.LBB3_1340:                             ;   in Loop: Header=BB3_3 Depth=1
	s_or_b64 exec, exec, s[18:19]
	s_waitcnt vmcnt(0)
	global_load_dwordx2 v[2:3], v[0:1], off offset:16
	s_waitcnt vmcnt(0)
	v_cmp_eq_u64_e32 vcc, 0, v[2:3]
	s_cbranch_vccnz .LBB3_1342
; %bb.1341:                             ;   in Loop: Header=BB3_3 Depth=1
	global_load_dword v50, v[0:1], off offset:24
	s_waitcnt vmcnt(0)
	v_and_b32_e32 v0, 0xffffff, v50
	v_readfirstlane_b32 m0, v0
	buffer_wbl2
	global_store_dwordx2 v[2:3], v[50:51], off
	s_sendmsg sendmsg(MSG_INTERRUPT)
.LBB3_1342:                             ;   in Loop: Header=BB3_3 Depth=1
	s_or_b64 exec, exec, s[16:17]
	v_add_co_u32_e32 v0, vcc, v6, v27
	v_addc_co_u32_e32 v1, vcc, 0, v7, vcc
	s_branch .LBB3_1346
.LBB3_1343:                             ;   in Loop: Header=BB3_1346 Depth=2
	s_or_b64 exec, exec, s[16:17]
	v_readfirstlane_b32 s16, v2
	s_cmp_eq_u32 s16, 0
	s_cbranch_scc1 .LBB3_1345
; %bb.1344:                             ;   in Loop: Header=BB3_1346 Depth=2
	s_sleep 1
	s_cbranch_execnz .LBB3_1346
	s_branch .LBB3_1348
.LBB3_1345:                             ;   in Loop: Header=BB3_3 Depth=1
	s_branch .LBB3_1348
.LBB3_1346:                             ;   Parent Loop BB3_3 Depth=1
                                        ; =>  This Inner Loop Header: Depth=2
	v_mov_b32_e32 v2, 1
	s_and_saveexec_b64 s[16:17], s[4:5]
	s_cbranch_execz .LBB3_1343
; %bb.1347:                             ;   in Loop: Header=BB3_1346 Depth=2
	global_load_dword v2, v[4:5], off offset:20 glc
	s_waitcnt vmcnt(0)
	buffer_invl2
	buffer_wbinvl1_vol
	v_and_b32_e32 v2, 1, v2
	s_branch .LBB3_1343
.LBB3_1348:                             ;   in Loop: Header=BB3_3 Depth=1
	global_load_dwordx2 v[0:1], v[0:1], off
	s_and_saveexec_b64 s[16:17], s[4:5]
	s_cbranch_execz .LBB3_1352
; %bb.1349:                             ;   in Loop: Header=BB3_3 Depth=1
	global_load_dwordx2 v[6:7], v51, s[12:13] offset:40
	global_load_dwordx2 v[8:9], v51, s[12:13] offset:24 glc
	global_load_dwordx2 v[10:11], v51, s[12:13]
	v_mov_b32_e32 v3, s15
	s_waitcnt vmcnt(2)
	v_add_co_u32_e32 v5, vcc, 1, v6
	v_addc_co_u32_e32 v12, vcc, 0, v7, vcc
	v_add_co_u32_e32 v2, vcc, s14, v5
	v_addc_co_u32_e32 v3, vcc, v12, v3, vcc
	v_cmp_eq_u64_e32 vcc, 0, v[2:3]
	v_cndmask_b32_e32 v3, v3, v12, vcc
	v_cndmask_b32_e32 v2, v2, v5, vcc
	v_and_b32_e32 v5, v3, v7
	v_and_b32_e32 v6, v2, v6
	v_mul_lo_u32 v5, v5, 24
	v_mul_hi_u32 v7, v6, 24
	v_mul_lo_u32 v6, v6, 24
	v_add_u32_e32 v5, v7, v5
	s_waitcnt vmcnt(0)
	v_add_co_u32_e32 v6, vcc, v10, v6
	v_addc_co_u32_e32 v7, vcc, v11, v5, vcc
	v_mov_b32_e32 v4, v8
	global_store_dwordx2 v[6:7], v[8:9], off
	v_mov_b32_e32 v5, v9
	buffer_wbl2
	s_waitcnt vmcnt(0)
	global_atomic_cmpswap_x2 v[4:5], v51, v[2:5], s[12:13] offset:24 glc
	s_waitcnt vmcnt(0)
	v_cmp_ne_u64_e32 vcc, v[4:5], v[8:9]
	s_and_b64 exec, exec, vcc
	s_cbranch_execz .LBB3_1352
; %bb.1350:                             ;   in Loop: Header=BB3_3 Depth=1
	s_mov_b64 s[4:5], 0
.LBB3_1351:                             ;   Parent Loop BB3_3 Depth=1
                                        ; =>  This Inner Loop Header: Depth=2
	s_sleep 1
	global_store_dwordx2 v[6:7], v[4:5], off
	buffer_wbl2
	s_waitcnt vmcnt(0)
	global_atomic_cmpswap_x2 v[8:9], v51, v[2:5], s[12:13] offset:24 glc
	s_waitcnt vmcnt(0)
	v_cmp_eq_u64_e32 vcc, v[8:9], v[4:5]
	s_or_b64 s[4:5], vcc, s[4:5]
	v_pk_mov_b32 v[4:5], v[8:9], v[8:9] op_sel:[0,1]
	s_andn2_b64 exec, exec, s[4:5]
	s_cbranch_execnz .LBB3_1351
.LBB3_1352:                             ;   in Loop: Header=BB3_3 Depth=1
	s_or_b64 exec, exec, s[16:17]
	s_and_b64 vcc, exec, s[48:49]
	s_cbranch_vccz .LBB3_1437
; %bb.1353:                             ;   in Loop: Header=BB3_3 Depth=1
	s_waitcnt vmcnt(0)
	v_and_b32_e32 v22, 2, v0
	v_and_b32_e32 v2, -3, v0
	v_mov_b32_e32 v3, v1
	s_mov_b64 s[16:17], 35
	s_getpc_b64 s[14:15]
	s_add_u32 s14, s14, .str.1@rel32@lo+4
	s_addc_u32 s15, s15, .str.1@rel32@hi+12
	s_branch .LBB3_1355
.LBB3_1354:                             ;   in Loop: Header=BB3_1355 Depth=2
	s_or_b64 exec, exec, s[22:23]
	s_sub_u32 s16, s16, s18
	s_subb_u32 s17, s17, s19
	s_add_u32 s14, s14, s18
	s_addc_u32 s15, s15, s19
	s_cmp_lg_u64 s[16:17], 0
	s_cbranch_scc0 .LBB3_1436
.LBB3_1355:                             ;   Parent Loop BB3_3 Depth=1
                                        ; =>  This Loop Header: Depth=2
                                        ;       Child Loop BB3_1358 Depth 3
                                        ;       Child Loop BB3_1365 Depth 3
	;; [unrolled: 1-line block ×11, first 2 shown]
	v_cmp_lt_u64_e64 s[4:5], s[16:17], 56
	s_and_b64 s[4:5], s[4:5], exec
	v_cmp_gt_u64_e64 s[4:5], s[16:17], 7
	s_cselect_b32 s19, s17, 0
	s_cselect_b32 s18, s16, 56
	s_and_b64 vcc, exec, s[4:5]
	s_cbranch_vccnz .LBB3_1360
; %bb.1356:                             ;   in Loop: Header=BB3_1355 Depth=2
	s_mov_b64 s[4:5], 0
	s_cmp_eq_u64 s[16:17], 0
	s_waitcnt vmcnt(0)
	v_pk_mov_b32 v[4:5], 0, 0
	s_cbranch_scc1 .LBB3_1359
; %bb.1357:                             ;   in Loop: Header=BB3_1355 Depth=2
	s_lshl_b64 s[20:21], s[18:19], 3
	s_mov_b64 s[22:23], 0
	v_pk_mov_b32 v[4:5], 0, 0
	s_mov_b64 s[24:25], s[14:15]
.LBB3_1358:                             ;   Parent Loop BB3_3 Depth=1
                                        ;     Parent Loop BB3_1355 Depth=2
                                        ; =>    This Inner Loop Header: Depth=3
	global_load_ubyte v6, v51, s[24:25]
	s_waitcnt vmcnt(0)
	v_and_b32_e32 v50, 0xffff, v6
	v_lshlrev_b64 v[6:7], s22, v[50:51]
	s_add_u32 s22, s22, 8
	s_addc_u32 s23, s23, 0
	s_add_u32 s24, s24, 1
	s_addc_u32 s25, s25, 0
	v_or_b32_e32 v4, v6, v4
	s_cmp_lg_u32 s20, s22
	v_or_b32_e32 v5, v7, v5
	s_cbranch_scc1 .LBB3_1358
.LBB3_1359:                             ;   in Loop: Header=BB3_1355 Depth=2
	s_mov_b32 s24, 0
	s_andn2_b64 vcc, exec, s[4:5]
	s_mov_b64 s[4:5], s[14:15]
	s_cbranch_vccz .LBB3_1361
	s_branch .LBB3_1362
.LBB3_1360:                             ;   in Loop: Header=BB3_1355 Depth=2
                                        ; implicit-def: $vgpr4_vgpr5
                                        ; implicit-def: $sgpr24
	s_mov_b64 s[4:5], s[14:15]
.LBB3_1361:                             ;   in Loop: Header=BB3_1355 Depth=2
	global_load_dwordx2 v[4:5], v51, s[14:15]
	s_add_i32 s24, s18, -8
	s_add_u32 s4, s14, 8
	s_addc_u32 s5, s15, 0
.LBB3_1362:                             ;   in Loop: Header=BB3_1355 Depth=2
	s_cmp_gt_u32 s24, 7
	s_cbranch_scc1 .LBB3_1366
; %bb.1363:                             ;   in Loop: Header=BB3_1355 Depth=2
	s_cmp_eq_u32 s24, 0
	s_cbranch_scc1 .LBB3_1367
; %bb.1364:                             ;   in Loop: Header=BB3_1355 Depth=2
	s_mov_b64 s[20:21], 0
	v_pk_mov_b32 v[6:7], 0, 0
	s_mov_b64 s[22:23], 0
.LBB3_1365:                             ;   Parent Loop BB3_3 Depth=1
                                        ;     Parent Loop BB3_1355 Depth=2
                                        ; =>    This Inner Loop Header: Depth=3
	s_add_u32 vcc_lo, s4, s22
	s_addc_u32 vcc_hi, s5, s23
	global_load_ubyte v8, v51, vcc
	s_add_u32 s22, s22, 1
	s_addc_u32 s23, s23, 0
	s_waitcnt vmcnt(0)
	v_and_b32_e32 v50, 0xffff, v8
	v_lshlrev_b64 v[8:9], s20, v[50:51]
	s_add_u32 s20, s20, 8
	s_addc_u32 s21, s21, 0
	v_or_b32_e32 v6, v8, v6
	s_cmp_lg_u32 s24, s22
	v_or_b32_e32 v7, v9, v7
	s_cbranch_scc1 .LBB3_1365
	s_branch .LBB3_1368
.LBB3_1366:                             ;   in Loop: Header=BB3_1355 Depth=2
                                        ; implicit-def: $vgpr6_vgpr7
                                        ; implicit-def: $sgpr25
	s_branch .LBB3_1369
.LBB3_1367:                             ;   in Loop: Header=BB3_1355 Depth=2
	v_pk_mov_b32 v[6:7], 0, 0
.LBB3_1368:                             ;   in Loop: Header=BB3_1355 Depth=2
	s_mov_b32 s25, 0
	s_cbranch_execnz .LBB3_1370
.LBB3_1369:                             ;   in Loop: Header=BB3_1355 Depth=2
	global_load_dwordx2 v[6:7], v51, s[4:5]
	s_add_i32 s25, s24, -8
	s_add_u32 s4, s4, 8
	s_addc_u32 s5, s5, 0
.LBB3_1370:                             ;   in Loop: Header=BB3_1355 Depth=2
	s_cmp_gt_u32 s25, 7
	s_cbranch_scc1 .LBB3_1374
; %bb.1371:                             ;   in Loop: Header=BB3_1355 Depth=2
	s_cmp_eq_u32 s25, 0
	s_cbranch_scc1 .LBB3_1375
; %bb.1372:                             ;   in Loop: Header=BB3_1355 Depth=2
	s_mov_b64 s[20:21], 0
	v_pk_mov_b32 v[8:9], 0, 0
	s_mov_b64 s[22:23], 0
.LBB3_1373:                             ;   Parent Loop BB3_3 Depth=1
                                        ;     Parent Loop BB3_1355 Depth=2
                                        ; =>    This Inner Loop Header: Depth=3
	s_add_u32 vcc_lo, s4, s22
	s_addc_u32 vcc_hi, s5, s23
	global_load_ubyte v10, v51, vcc
	s_add_u32 s22, s22, 1
	s_addc_u32 s23, s23, 0
	s_waitcnt vmcnt(0)
	v_and_b32_e32 v50, 0xffff, v10
	v_lshlrev_b64 v[10:11], s20, v[50:51]
	s_add_u32 s20, s20, 8
	s_addc_u32 s21, s21, 0
	v_or_b32_e32 v8, v10, v8
	s_cmp_lg_u32 s25, s22
	v_or_b32_e32 v9, v11, v9
	s_cbranch_scc1 .LBB3_1373
	s_branch .LBB3_1376
.LBB3_1374:                             ;   in Loop: Header=BB3_1355 Depth=2
                                        ; implicit-def: $sgpr24
	s_branch .LBB3_1377
.LBB3_1375:                             ;   in Loop: Header=BB3_1355 Depth=2
	v_pk_mov_b32 v[8:9], 0, 0
.LBB3_1376:                             ;   in Loop: Header=BB3_1355 Depth=2
	s_mov_b32 s24, 0
	s_cbranch_execnz .LBB3_1378
.LBB3_1377:                             ;   in Loop: Header=BB3_1355 Depth=2
	global_load_dwordx2 v[8:9], v51, s[4:5]
	s_add_i32 s24, s25, -8
	s_add_u32 s4, s4, 8
	s_addc_u32 s5, s5, 0
.LBB3_1378:                             ;   in Loop: Header=BB3_1355 Depth=2
	s_cmp_gt_u32 s24, 7
	s_cbranch_scc1 .LBB3_1382
; %bb.1379:                             ;   in Loop: Header=BB3_1355 Depth=2
	s_cmp_eq_u32 s24, 0
	s_cbranch_scc1 .LBB3_1383
; %bb.1380:                             ;   in Loop: Header=BB3_1355 Depth=2
	s_mov_b64 s[20:21], 0
	v_pk_mov_b32 v[10:11], 0, 0
	s_mov_b64 s[22:23], 0
.LBB3_1381:                             ;   Parent Loop BB3_3 Depth=1
                                        ;     Parent Loop BB3_1355 Depth=2
                                        ; =>    This Inner Loop Header: Depth=3
	s_add_u32 vcc_lo, s4, s22
	s_addc_u32 vcc_hi, s5, s23
	global_load_ubyte v12, v51, vcc
	s_add_u32 s22, s22, 1
	s_addc_u32 s23, s23, 0
	s_waitcnt vmcnt(0)
	v_and_b32_e32 v50, 0xffff, v12
	v_lshlrev_b64 v[12:13], s20, v[50:51]
	s_add_u32 s20, s20, 8
	s_addc_u32 s21, s21, 0
	v_or_b32_e32 v10, v12, v10
	s_cmp_lg_u32 s24, s22
	v_or_b32_e32 v11, v13, v11
	s_cbranch_scc1 .LBB3_1381
	s_branch .LBB3_1384
.LBB3_1382:                             ;   in Loop: Header=BB3_1355 Depth=2
                                        ; implicit-def: $vgpr10_vgpr11
                                        ; implicit-def: $sgpr25
	s_branch .LBB3_1385
.LBB3_1383:                             ;   in Loop: Header=BB3_1355 Depth=2
	v_pk_mov_b32 v[10:11], 0, 0
.LBB3_1384:                             ;   in Loop: Header=BB3_1355 Depth=2
	s_mov_b32 s25, 0
	s_cbranch_execnz .LBB3_1386
.LBB3_1385:                             ;   in Loop: Header=BB3_1355 Depth=2
	global_load_dwordx2 v[10:11], v51, s[4:5]
	s_add_i32 s25, s24, -8
	s_add_u32 s4, s4, 8
	s_addc_u32 s5, s5, 0
.LBB3_1386:                             ;   in Loop: Header=BB3_1355 Depth=2
	s_cmp_gt_u32 s25, 7
	s_cbranch_scc1 .LBB3_1390
; %bb.1387:                             ;   in Loop: Header=BB3_1355 Depth=2
	s_cmp_eq_u32 s25, 0
	s_cbranch_scc1 .LBB3_1391
; %bb.1388:                             ;   in Loop: Header=BB3_1355 Depth=2
	s_mov_b64 s[20:21], 0
	v_pk_mov_b32 v[12:13], 0, 0
	s_mov_b64 s[22:23], 0
.LBB3_1389:                             ;   Parent Loop BB3_3 Depth=1
                                        ;     Parent Loop BB3_1355 Depth=2
                                        ; =>    This Inner Loop Header: Depth=3
	s_add_u32 vcc_lo, s4, s22
	s_addc_u32 vcc_hi, s5, s23
	global_load_ubyte v14, v51, vcc
	s_add_u32 s22, s22, 1
	s_addc_u32 s23, s23, 0
	s_waitcnt vmcnt(0)
	v_and_b32_e32 v50, 0xffff, v14
	v_lshlrev_b64 v[14:15], s20, v[50:51]
	s_add_u32 s20, s20, 8
	s_addc_u32 s21, s21, 0
	v_or_b32_e32 v12, v14, v12
	s_cmp_lg_u32 s25, s22
	v_or_b32_e32 v13, v15, v13
	s_cbranch_scc1 .LBB3_1389
	s_branch .LBB3_1392
.LBB3_1390:                             ;   in Loop: Header=BB3_1355 Depth=2
                                        ; implicit-def: $sgpr24
	s_branch .LBB3_1393
.LBB3_1391:                             ;   in Loop: Header=BB3_1355 Depth=2
	v_pk_mov_b32 v[12:13], 0, 0
.LBB3_1392:                             ;   in Loop: Header=BB3_1355 Depth=2
	s_mov_b32 s24, 0
	s_cbranch_execnz .LBB3_1394
.LBB3_1393:                             ;   in Loop: Header=BB3_1355 Depth=2
	global_load_dwordx2 v[12:13], v51, s[4:5]
	s_add_i32 s24, s25, -8
	s_add_u32 s4, s4, 8
	s_addc_u32 s5, s5, 0
.LBB3_1394:                             ;   in Loop: Header=BB3_1355 Depth=2
	s_cmp_gt_u32 s24, 7
	s_cbranch_scc1 .LBB3_1398
; %bb.1395:                             ;   in Loop: Header=BB3_1355 Depth=2
	s_cmp_eq_u32 s24, 0
	s_cbranch_scc1 .LBB3_1399
; %bb.1396:                             ;   in Loop: Header=BB3_1355 Depth=2
	s_mov_b64 s[20:21], 0
	v_pk_mov_b32 v[14:15], 0, 0
	s_mov_b64 s[22:23], 0
.LBB3_1397:                             ;   Parent Loop BB3_3 Depth=1
                                        ;     Parent Loop BB3_1355 Depth=2
                                        ; =>    This Inner Loop Header: Depth=3
	s_add_u32 vcc_lo, s4, s22
	s_addc_u32 vcc_hi, s5, s23
	global_load_ubyte v16, v51, vcc
	s_add_u32 s22, s22, 1
	s_addc_u32 s23, s23, 0
	s_waitcnt vmcnt(0)
	v_and_b32_e32 v50, 0xffff, v16
	v_lshlrev_b64 v[16:17], s20, v[50:51]
	s_add_u32 s20, s20, 8
	s_addc_u32 s21, s21, 0
	v_or_b32_e32 v14, v16, v14
	s_cmp_lg_u32 s24, s22
	v_or_b32_e32 v15, v17, v15
	s_cbranch_scc1 .LBB3_1397
	s_branch .LBB3_1400
.LBB3_1398:                             ;   in Loop: Header=BB3_1355 Depth=2
                                        ; implicit-def: $vgpr14_vgpr15
                                        ; implicit-def: $sgpr25
	s_branch .LBB3_1401
.LBB3_1399:                             ;   in Loop: Header=BB3_1355 Depth=2
	v_pk_mov_b32 v[14:15], 0, 0
.LBB3_1400:                             ;   in Loop: Header=BB3_1355 Depth=2
	s_mov_b32 s25, 0
	s_cbranch_execnz .LBB3_1402
.LBB3_1401:                             ;   in Loop: Header=BB3_1355 Depth=2
	global_load_dwordx2 v[14:15], v51, s[4:5]
	s_add_i32 s25, s24, -8
	s_add_u32 s4, s4, 8
	s_addc_u32 s5, s5, 0
.LBB3_1402:                             ;   in Loop: Header=BB3_1355 Depth=2
	s_cmp_gt_u32 s25, 7
	s_cbranch_scc1 .LBB3_1406
; %bb.1403:                             ;   in Loop: Header=BB3_1355 Depth=2
	s_cmp_eq_u32 s25, 0
	s_cbranch_scc1 .LBB3_1407
; %bb.1404:                             ;   in Loop: Header=BB3_1355 Depth=2
	s_mov_b64 s[20:21], 0
	v_pk_mov_b32 v[16:17], 0, 0
	s_mov_b64 s[22:23], s[4:5]
.LBB3_1405:                             ;   Parent Loop BB3_3 Depth=1
                                        ;     Parent Loop BB3_1355 Depth=2
                                        ; =>    This Inner Loop Header: Depth=3
	global_load_ubyte v18, v51, s[22:23]
	s_add_i32 s25, s25, -1
	s_waitcnt vmcnt(0)
	v_and_b32_e32 v50, 0xffff, v18
	v_lshlrev_b64 v[18:19], s20, v[50:51]
	s_add_u32 s20, s20, 8
	s_addc_u32 s21, s21, 0
	s_add_u32 s22, s22, 1
	s_addc_u32 s23, s23, 0
	v_or_b32_e32 v16, v18, v16
	s_cmp_lg_u32 s25, 0
	v_or_b32_e32 v17, v19, v17
	s_cbranch_scc1 .LBB3_1405
	s_branch .LBB3_1408
.LBB3_1406:                             ;   in Loop: Header=BB3_1355 Depth=2
	s_branch .LBB3_1409
.LBB3_1407:                             ;   in Loop: Header=BB3_1355 Depth=2
	v_pk_mov_b32 v[16:17], 0, 0
.LBB3_1408:                             ;   in Loop: Header=BB3_1355 Depth=2
	s_cbranch_execnz .LBB3_1410
.LBB3_1409:                             ;   in Loop: Header=BB3_1355 Depth=2
	global_load_dwordx2 v[16:17], v51, s[4:5]
.LBB3_1410:                             ;   in Loop: Header=BB3_1355 Depth=2
	v_readfirstlane_b32 s4, v57
	v_cmp_eq_u32_e64 s[4:5], s4, v57
	v_pk_mov_b32 v[24:25], 0, 0
	s_and_saveexec_b64 s[20:21], s[4:5]
	s_cbranch_execz .LBB3_1416
; %bb.1411:                             ;   in Loop: Header=BB3_1355 Depth=2
	global_load_dwordx2 v[20:21], v51, s[12:13] offset:24 glc
	s_waitcnt vmcnt(0)
	buffer_invl2
	buffer_wbinvl1_vol
	global_load_dwordx2 v[18:19], v51, s[12:13] offset:40
	global_load_dwordx2 v[24:25], v51, s[12:13]
	s_waitcnt vmcnt(1)
	v_and_b32_e32 v18, v18, v20
	v_and_b32_e32 v19, v19, v21
	v_mul_lo_u32 v19, v19, 24
	v_mul_hi_u32 v29, v18, 24
	v_mul_lo_u32 v18, v18, 24
	v_add_u32_e32 v19, v29, v19
	s_waitcnt vmcnt(0)
	v_add_co_u32_e32 v18, vcc, v24, v18
	v_addc_co_u32_e32 v19, vcc, v25, v19, vcc
	global_load_dwordx2 v[18:19], v[18:19], off glc
	s_waitcnt vmcnt(0)
	global_atomic_cmpswap_x2 v[24:25], v51, v[18:21], s[12:13] offset:24 glc
	s_waitcnt vmcnt(0)
	buffer_invl2
	buffer_wbinvl1_vol
	v_cmp_ne_u64_e32 vcc, v[24:25], v[20:21]
	s_and_saveexec_b64 s[22:23], vcc
	s_cbranch_execz .LBB3_1415
; %bb.1412:                             ;   in Loop: Header=BB3_1355 Depth=2
	s_mov_b64 s[24:25], 0
.LBB3_1413:                             ;   Parent Loop BB3_3 Depth=1
                                        ;     Parent Loop BB3_1355 Depth=2
                                        ; =>    This Inner Loop Header: Depth=3
	s_sleep 1
	global_load_dwordx2 v[18:19], v51, s[12:13] offset:40
	global_load_dwordx2 v[30:31], v51, s[12:13]
	v_pk_mov_b32 v[20:21], v[24:25], v[24:25] op_sel:[0,1]
	s_waitcnt vmcnt(1)
	v_and_b32_e32 v18, v18, v20
	v_and_b32_e32 v25, v19, v21
	s_waitcnt vmcnt(0)
	v_mad_u64_u32 v[18:19], vcc, v18, 24, v[30:31]
	v_mov_b32_e32 v24, v19
	v_mad_u64_u32 v[24:25], vcc, v25, 24, v[24:25]
	v_mov_b32_e32 v19, v24
	global_load_dwordx2 v[18:19], v[18:19], off glc
	s_waitcnt vmcnt(0)
	global_atomic_cmpswap_x2 v[24:25], v51, v[18:21], s[12:13] offset:24 glc
	s_waitcnt vmcnt(0)
	buffer_invl2
	buffer_wbinvl1_vol
	v_cmp_eq_u64_e32 vcc, v[24:25], v[20:21]
	s_or_b64 s[24:25], vcc, s[24:25]
	s_andn2_b64 exec, exec, s[24:25]
	s_cbranch_execnz .LBB3_1413
; %bb.1414:                             ;   in Loop: Header=BB3_1355 Depth=2
	s_or_b64 exec, exec, s[24:25]
.LBB3_1415:                             ;   in Loop: Header=BB3_1355 Depth=2
	s_or_b64 exec, exec, s[22:23]
.LBB3_1416:                             ;   in Loop: Header=BB3_1355 Depth=2
	s_or_b64 exec, exec, s[20:21]
	global_load_dwordx2 v[30:31], v51, s[12:13] offset:40
	global_load_dwordx4 v[18:21], v51, s[12:13]
	v_readfirstlane_b32 s20, v24
	v_readfirstlane_b32 s21, v25
	s_mov_b64 s[22:23], exec
	s_waitcnt vmcnt(1)
	v_readfirstlane_b32 s24, v30
	v_readfirstlane_b32 s25, v31
	s_and_b64 s[24:25], s[20:21], s[24:25]
	s_mul_i32 s29, s25, 24
	s_mul_hi_u32 vcc_lo, s24, 24
	s_mul_i32 vcc_hi, s24, 24
	s_add_i32 s29, vcc_lo, s29
	v_mov_b32_e32 v25, s29
	s_waitcnt vmcnt(0)
	v_add_co_u32_e32 v24, vcc, vcc_hi, v18
	v_addc_co_u32_e32 v25, vcc, v19, v25, vcc
	s_and_saveexec_b64 vcc, s[4:5]
	s_cbranch_execz .LBB3_1418
; %bb.1417:                             ;   in Loop: Header=BB3_1355 Depth=2
	v_pk_mov_b32 v[40:41], s[22:23], s[22:23] op_sel:[0,1]
	global_store_dwordx4 v[24:25], v[40:43], off offset:8
.LBB3_1418:                             ;   in Loop: Header=BB3_1355 Depth=2
	s_or_b64 exec, exec, vcc
	s_lshl_b64 s[22:23], s[24:25], 12
	v_mov_b32_e32 v29, s23
	v_add_co_u32_e32 v20, vcc, s22, v20
	v_addc_co_u32_e32 v21, vcc, v21, v29, vcc
	v_or_b32_e32 v30, v2, v22
	v_cmp_gt_u64_e64 vcc, s[16:17], 56
	s_lshl_b32 s22, s18, 2
	v_cndmask_b32_e32 v2, v30, v2, vcc
	s_add_i32 s22, s22, 28
	v_or_b32_e32 v29, 0, v3
	s_and_b32 s22, s22, 0x1e0
	v_and_b32_e32 v2, 0xffffff1f, v2
	v_cndmask_b32_e32 v3, v29, v3, vcc
	v_or_b32_e32 v2, s22, v2
	v_readfirstlane_b32 s22, v20
	v_readfirstlane_b32 s23, v21
	s_nop 4
	global_store_dwordx4 v27, v[2:5], s[22:23]
	global_store_dwordx4 v27, v[6:9], s[22:23] offset:16
	global_store_dwordx4 v27, v[10:13], s[22:23] offset:32
	global_store_dwordx4 v27, v[14:17], s[22:23] offset:48
	s_and_saveexec_b64 s[22:23], s[4:5]
	s_cbranch_execz .LBB3_1426
; %bb.1419:                             ;   in Loop: Header=BB3_1355 Depth=2
	global_load_dwordx2 v[10:11], v51, s[12:13] offset:32 glc
	global_load_dwordx2 v[2:3], v51, s[12:13] offset:40
	v_mov_b32_e32 v8, s20
	v_mov_b32_e32 v9, s21
	s_waitcnt vmcnt(0)
	v_readfirstlane_b32 s24, v2
	v_readfirstlane_b32 s25, v3
	s_and_b64 s[24:25], s[24:25], s[20:21]
	s_mul_i32 s25, s25, 24
	s_mul_hi_u32 s29, s24, 24
	s_mul_i32 s24, s24, 24
	s_add_i32 s25, s29, s25
	v_mov_b32_e32 v2, s25
	v_add_co_u32_e32 v6, vcc, s24, v18
	v_addc_co_u32_e32 v7, vcc, v19, v2, vcc
	global_store_dwordx2 v[6:7], v[10:11], off
	buffer_wbl2
	s_waitcnt vmcnt(0)
	global_atomic_cmpswap_x2 v[4:5], v51, v[8:11], s[12:13] offset:32 glc
	s_waitcnt vmcnt(0)
	v_cmp_ne_u64_e32 vcc, v[4:5], v[10:11]
	s_and_saveexec_b64 s[24:25], vcc
	s_cbranch_execz .LBB3_1422
; %bb.1420:                             ;   in Loop: Header=BB3_1355 Depth=2
	s_mov_b64 s[30:31], 0
.LBB3_1421:                             ;   Parent Loop BB3_3 Depth=1
                                        ;     Parent Loop BB3_1355 Depth=2
                                        ; =>    This Inner Loop Header: Depth=3
	s_sleep 1
	global_store_dwordx2 v[6:7], v[4:5], off
	v_mov_b32_e32 v2, s20
	v_mov_b32_e32 v3, s21
	buffer_wbl2
	s_waitcnt vmcnt(0)
	global_atomic_cmpswap_x2 v[2:3], v51, v[2:5], s[12:13] offset:32 glc
	s_waitcnt vmcnt(0)
	v_cmp_eq_u64_e32 vcc, v[2:3], v[4:5]
	s_or_b64 s[30:31], vcc, s[30:31]
	v_pk_mov_b32 v[4:5], v[2:3], v[2:3] op_sel:[0,1]
	s_andn2_b64 exec, exec, s[30:31]
	s_cbranch_execnz .LBB3_1421
.LBB3_1422:                             ;   in Loop: Header=BB3_1355 Depth=2
	s_or_b64 exec, exec, s[24:25]
	global_load_dwordx2 v[2:3], v51, s[12:13] offset:16
	s_mov_b64 s[30:31], exec
	v_mbcnt_lo_u32_b32 v4, s30, 0
	v_mbcnt_hi_u32_b32 v4, s31, v4
	v_cmp_eq_u32_e32 vcc, 0, v4
	s_and_saveexec_b64 s[24:25], vcc
	s_cbranch_execz .LBB3_1424
; %bb.1423:                             ;   in Loop: Header=BB3_1355 Depth=2
	s_bcnt1_i32_b64 s29, s[30:31]
	v_mov_b32_e32 v50, s29
	buffer_wbl2
	s_waitcnt vmcnt(0)
	global_atomic_add_x2 v[2:3], v[50:51], off offset:8
.LBB3_1424:                             ;   in Loop: Header=BB3_1355 Depth=2
	s_or_b64 exec, exec, s[24:25]
	s_waitcnt vmcnt(0)
	global_load_dwordx2 v[4:5], v[2:3], off offset:16
	s_waitcnt vmcnt(0)
	v_cmp_eq_u64_e32 vcc, 0, v[4:5]
	s_cbranch_vccnz .LBB3_1426
; %bb.1425:                             ;   in Loop: Header=BB3_1355 Depth=2
	global_load_dword v50, v[2:3], off offset:24
	s_waitcnt vmcnt(0)
	v_and_b32_e32 v2, 0xffffff, v50
	v_readfirstlane_b32 m0, v2
	buffer_wbl2
	global_store_dwordx2 v[4:5], v[50:51], off
	s_sendmsg sendmsg(MSG_INTERRUPT)
.LBB3_1426:                             ;   in Loop: Header=BB3_1355 Depth=2
	s_or_b64 exec, exec, s[22:23]
	v_add_co_u32_e32 v2, vcc, v20, v27
	v_addc_co_u32_e32 v3, vcc, 0, v21, vcc
	s_branch .LBB3_1430
.LBB3_1427:                             ;   in Loop: Header=BB3_1430 Depth=3
	s_or_b64 exec, exec, s[22:23]
	v_readfirstlane_b32 s22, v4
	s_cmp_eq_u32 s22, 0
	s_cbranch_scc1 .LBB3_1429
; %bb.1428:                             ;   in Loop: Header=BB3_1430 Depth=3
	s_sleep 1
	s_cbranch_execnz .LBB3_1430
	s_branch .LBB3_1432
.LBB3_1429:                             ;   in Loop: Header=BB3_1355 Depth=2
	s_branch .LBB3_1432
.LBB3_1430:                             ;   Parent Loop BB3_3 Depth=1
                                        ;     Parent Loop BB3_1355 Depth=2
                                        ; =>    This Inner Loop Header: Depth=3
	v_mov_b32_e32 v4, 1
	s_and_saveexec_b64 s[22:23], s[4:5]
	s_cbranch_execz .LBB3_1427
; %bb.1431:                             ;   in Loop: Header=BB3_1430 Depth=3
	global_load_dword v4, v[24:25], off offset:20 glc
	s_waitcnt vmcnt(0)
	buffer_invl2
	buffer_wbinvl1_vol
	v_and_b32_e32 v4, 1, v4
	s_branch .LBB3_1427
.LBB3_1432:                             ;   in Loop: Header=BB3_1355 Depth=2
	global_load_dwordx4 v[2:5], v[2:3], off
	s_and_saveexec_b64 s[22:23], s[4:5]
	s_cbranch_execz .LBB3_1354
; %bb.1433:                             ;   in Loop: Header=BB3_1355 Depth=2
	global_load_dwordx2 v[8:9], v51, s[12:13] offset:40
	global_load_dwordx2 v[10:11], v51, s[12:13] offset:24 glc
	global_load_dwordx2 v[12:13], v51, s[12:13]
	s_waitcnt vmcnt(3)
	v_mov_b32_e32 v5, s21
	s_waitcnt vmcnt(2)
	v_add_co_u32_e32 v7, vcc, 1, v8
	v_addc_co_u32_e32 v14, vcc, 0, v9, vcc
	v_add_co_u32_e32 v4, vcc, s20, v7
	v_addc_co_u32_e32 v5, vcc, v14, v5, vcc
	v_cmp_eq_u64_e32 vcc, 0, v[4:5]
	v_cndmask_b32_e32 v5, v5, v14, vcc
	v_cndmask_b32_e32 v4, v4, v7, vcc
	v_and_b32_e32 v7, v5, v9
	v_and_b32_e32 v8, v4, v8
	v_mul_lo_u32 v7, v7, 24
	v_mul_hi_u32 v9, v8, 24
	v_mul_lo_u32 v8, v8, 24
	v_add_u32_e32 v7, v9, v7
	s_waitcnt vmcnt(0)
	v_add_co_u32_e32 v8, vcc, v12, v8
	v_addc_co_u32_e32 v9, vcc, v13, v7, vcc
	v_mov_b32_e32 v6, v10
	global_store_dwordx2 v[8:9], v[10:11], off
	v_mov_b32_e32 v7, v11
	buffer_wbl2
	s_waitcnt vmcnt(0)
	global_atomic_cmpswap_x2 v[6:7], v51, v[4:7], s[12:13] offset:24 glc
	s_waitcnt vmcnt(0)
	v_cmp_ne_u64_e32 vcc, v[6:7], v[10:11]
	s_and_b64 exec, exec, vcc
	s_cbranch_execz .LBB3_1354
; %bb.1434:                             ;   in Loop: Header=BB3_1355 Depth=2
	s_mov_b64 s[4:5], 0
.LBB3_1435:                             ;   Parent Loop BB3_3 Depth=1
                                        ;     Parent Loop BB3_1355 Depth=2
                                        ; =>    This Inner Loop Header: Depth=3
	s_sleep 1
	global_store_dwordx2 v[8:9], v[6:7], off
	buffer_wbl2
	s_waitcnt vmcnt(0)
	global_atomic_cmpswap_x2 v[10:11], v51, v[4:7], s[12:13] offset:24 glc
	s_waitcnt vmcnt(0)
	v_cmp_eq_u64_e32 vcc, v[10:11], v[6:7]
	s_or_b64 s[4:5], vcc, s[4:5]
	v_pk_mov_b32 v[6:7], v[10:11], v[10:11] op_sel:[0,1]
	s_andn2_b64 exec, exec, s[4:5]
	s_cbranch_execnz .LBB3_1435
	s_branch .LBB3_1354
.LBB3_1436:                             ;   in Loop: Header=BB3_3 Depth=1
	s_branch .LBB3_1465
.LBB3_1437:                             ;   in Loop: Header=BB3_3 Depth=1
                                        ; implicit-def: $vgpr2_vgpr3
	s_cbranch_execz .LBB3_1465
; %bb.1438:                             ;   in Loop: Header=BB3_3 Depth=1
	v_readfirstlane_b32 s4, v57
	v_cmp_eq_u32_e64 s[4:5], s4, v57
	s_waitcnt vmcnt(0)
	v_pk_mov_b32 v[2:3], 0, 0
	s_and_saveexec_b64 s[14:15], s[4:5]
	s_cbranch_execz .LBB3_1444
; %bb.1439:                             ;   in Loop: Header=BB3_3 Depth=1
	global_load_dwordx2 v[4:5], v51, s[12:13] offset:24 glc
	s_waitcnt vmcnt(0)
	buffer_invl2
	buffer_wbinvl1_vol
	global_load_dwordx2 v[2:3], v51, s[12:13] offset:40
	global_load_dwordx2 v[6:7], v51, s[12:13]
	s_waitcnt vmcnt(1)
	v_and_b32_e32 v2, v2, v4
	v_and_b32_e32 v3, v3, v5
	v_mul_lo_u32 v3, v3, 24
	v_mul_hi_u32 v8, v2, 24
	v_mul_lo_u32 v2, v2, 24
	v_add_u32_e32 v3, v8, v3
	s_waitcnt vmcnt(0)
	v_add_co_u32_e32 v2, vcc, v6, v2
	v_addc_co_u32_e32 v3, vcc, v7, v3, vcc
	global_load_dwordx2 v[2:3], v[2:3], off glc
	s_waitcnt vmcnt(0)
	global_atomic_cmpswap_x2 v[2:3], v51, v[2:5], s[12:13] offset:24 glc
	s_waitcnt vmcnt(0)
	buffer_invl2
	buffer_wbinvl1_vol
	v_cmp_ne_u64_e32 vcc, v[2:3], v[4:5]
	s_and_saveexec_b64 s[16:17], vcc
	s_cbranch_execz .LBB3_1443
; %bb.1440:                             ;   in Loop: Header=BB3_3 Depth=1
	s_mov_b64 s[18:19], 0
.LBB3_1441:                             ;   Parent Loop BB3_3 Depth=1
                                        ; =>  This Inner Loop Header: Depth=2
	s_sleep 1
	global_load_dwordx2 v[6:7], v51, s[12:13] offset:40
	global_load_dwordx2 v[8:9], v51, s[12:13]
	v_pk_mov_b32 v[4:5], v[2:3], v[2:3] op_sel:[0,1]
	s_waitcnt vmcnt(1)
	v_and_b32_e32 v2, v6, v4
	s_waitcnt vmcnt(0)
	v_mad_u64_u32 v[2:3], s[20:21], v2, 24, v[8:9]
	v_and_b32_e32 v7, v7, v5
	v_mov_b32_e32 v6, v3
	v_mad_u64_u32 v[6:7], s[20:21], v7, 24, v[6:7]
	v_mov_b32_e32 v3, v6
	global_load_dwordx2 v[2:3], v[2:3], off glc
	s_waitcnt vmcnt(0)
	global_atomic_cmpswap_x2 v[2:3], v51, v[2:5], s[12:13] offset:24 glc
	s_waitcnt vmcnt(0)
	buffer_invl2
	buffer_wbinvl1_vol
	v_cmp_eq_u64_e32 vcc, v[2:3], v[4:5]
	s_or_b64 s[18:19], vcc, s[18:19]
	s_andn2_b64 exec, exec, s[18:19]
	s_cbranch_execnz .LBB3_1441
; %bb.1442:                             ;   in Loop: Header=BB3_3 Depth=1
	s_or_b64 exec, exec, s[18:19]
.LBB3_1443:                             ;   in Loop: Header=BB3_3 Depth=1
	s_or_b64 exec, exec, s[16:17]
.LBB3_1444:                             ;   in Loop: Header=BB3_3 Depth=1
	s_or_b64 exec, exec, s[14:15]
	global_load_dwordx2 v[8:9], v51, s[12:13] offset:40
	global_load_dwordx4 v[4:7], v51, s[12:13]
	v_readfirstlane_b32 s14, v2
	v_readfirstlane_b32 s15, v3
	s_mov_b64 s[16:17], exec
	s_waitcnt vmcnt(1)
	v_readfirstlane_b32 s18, v8
	v_readfirstlane_b32 s19, v9
	s_and_b64 s[18:19], s[14:15], s[18:19]
	s_mul_i32 s20, s19, 24
	s_mul_hi_u32 s21, s18, 24
	s_mul_i32 s22, s18, 24
	s_add_i32 s20, s21, s20
	v_mov_b32_e32 v2, s20
	s_waitcnt vmcnt(0)
	v_add_co_u32_e32 v8, vcc, s22, v4
	v_addc_co_u32_e32 v9, vcc, v5, v2, vcc
	s_and_saveexec_b64 s[20:21], s[4:5]
	s_cbranch_execz .LBB3_1446
; %bb.1445:                             ;   in Loop: Header=BB3_3 Depth=1
	v_pk_mov_b32 v[40:41], s[16:17], s[16:17] op_sel:[0,1]
	global_store_dwordx4 v[8:9], v[40:43], off offset:8
.LBB3_1446:                             ;   in Loop: Header=BB3_3 Depth=1
	s_or_b64 exec, exec, s[20:21]
	s_lshl_b64 s[16:17], s[18:19], 12
	v_mov_b32_e32 v2, s17
	v_add_co_u32_e32 v6, vcc, s16, v6
	v_addc_co_u32_e32 v7, vcc, v7, v2, vcc
	v_and_or_b32 v0, v0, s71, 32
	v_mov_b32_e32 v2, v51
	v_mov_b32_e32 v3, v51
	v_readfirstlane_b32 s16, v6
	v_readfirstlane_b32 s17, v7
	s_mov_b32 s29, s28
	s_mov_b32 s30, s28
	;; [unrolled: 1-line block ×3, first 2 shown]
	s_nop 1
	global_store_dwordx4 v27, v[0:3], s[16:17]
	s_nop 0
	v_pk_mov_b32 v[0:1], s[28:29], s[28:29] op_sel:[0,1]
	v_pk_mov_b32 v[2:3], s[30:31], s[30:31] op_sel:[0,1]
	global_store_dwordx4 v27, v[0:3], s[16:17] offset:16
	global_store_dwordx4 v27, v[0:3], s[16:17] offset:32
	;; [unrolled: 1-line block ×3, first 2 shown]
	s_and_saveexec_b64 s[16:17], s[4:5]
	s_cbranch_execz .LBB3_1454
; %bb.1447:                             ;   in Loop: Header=BB3_3 Depth=1
	global_load_dwordx2 v[12:13], v51, s[12:13] offset:32 glc
	global_load_dwordx2 v[0:1], v51, s[12:13] offset:40
	v_mov_b32_e32 v10, s14
	v_mov_b32_e32 v11, s15
	s_waitcnt vmcnt(0)
	v_readfirstlane_b32 s18, v0
	v_readfirstlane_b32 s19, v1
	s_and_b64 s[18:19], s[18:19], s[14:15]
	s_mul_i32 s19, s19, 24
	s_mul_hi_u32 s20, s18, 24
	s_mul_i32 s18, s18, 24
	s_add_i32 s19, s20, s19
	v_mov_b32_e32 v0, s19
	v_add_co_u32_e32 v4, vcc, s18, v4
	v_addc_co_u32_e32 v5, vcc, v5, v0, vcc
	global_store_dwordx2 v[4:5], v[12:13], off
	buffer_wbl2
	s_waitcnt vmcnt(0)
	global_atomic_cmpswap_x2 v[2:3], v51, v[10:13], s[12:13] offset:32 glc
	s_waitcnt vmcnt(0)
	v_cmp_ne_u64_e32 vcc, v[2:3], v[12:13]
	s_and_saveexec_b64 s[18:19], vcc
	s_cbranch_execz .LBB3_1450
; %bb.1448:                             ;   in Loop: Header=BB3_3 Depth=1
	s_mov_b64 s[20:21], 0
.LBB3_1449:                             ;   Parent Loop BB3_3 Depth=1
                                        ; =>  This Inner Loop Header: Depth=2
	s_sleep 1
	global_store_dwordx2 v[4:5], v[2:3], off
	v_mov_b32_e32 v0, s14
	v_mov_b32_e32 v1, s15
	buffer_wbl2
	s_waitcnt vmcnt(0)
	global_atomic_cmpswap_x2 v[0:1], v51, v[0:3], s[12:13] offset:32 glc
	s_waitcnt vmcnt(0)
	v_cmp_eq_u64_e32 vcc, v[0:1], v[2:3]
	s_or_b64 s[20:21], vcc, s[20:21]
	v_pk_mov_b32 v[2:3], v[0:1], v[0:1] op_sel:[0,1]
	s_andn2_b64 exec, exec, s[20:21]
	s_cbranch_execnz .LBB3_1449
.LBB3_1450:                             ;   in Loop: Header=BB3_3 Depth=1
	s_or_b64 exec, exec, s[18:19]
	global_load_dwordx2 v[0:1], v51, s[12:13] offset:16
	s_mov_b64 s[20:21], exec
	v_mbcnt_lo_u32_b32 v2, s20, 0
	v_mbcnt_hi_u32_b32 v2, s21, v2
	v_cmp_eq_u32_e32 vcc, 0, v2
	s_and_saveexec_b64 s[18:19], vcc
	s_cbranch_execz .LBB3_1452
; %bb.1451:                             ;   in Loop: Header=BB3_3 Depth=1
	s_bcnt1_i32_b64 s20, s[20:21]
	v_mov_b32_e32 v50, s20
	buffer_wbl2
	s_waitcnt vmcnt(0)
	global_atomic_add_x2 v[0:1], v[50:51], off offset:8
.LBB3_1452:                             ;   in Loop: Header=BB3_3 Depth=1
	s_or_b64 exec, exec, s[18:19]
	s_waitcnt vmcnt(0)
	global_load_dwordx2 v[2:3], v[0:1], off offset:16
	s_waitcnt vmcnt(0)
	v_cmp_eq_u64_e32 vcc, 0, v[2:3]
	s_cbranch_vccnz .LBB3_1454
; %bb.1453:                             ;   in Loop: Header=BB3_3 Depth=1
	global_load_dword v50, v[0:1], off offset:24
	s_waitcnt vmcnt(0)
	v_and_b32_e32 v0, 0xffffff, v50
	v_readfirstlane_b32 m0, v0
	buffer_wbl2
	global_store_dwordx2 v[2:3], v[50:51], off
	s_sendmsg sendmsg(MSG_INTERRUPT)
.LBB3_1454:                             ;   in Loop: Header=BB3_3 Depth=1
	s_or_b64 exec, exec, s[16:17]
	v_add_co_u32_e32 v0, vcc, v6, v27
	v_addc_co_u32_e32 v1, vcc, 0, v7, vcc
	s_branch .LBB3_1458
.LBB3_1455:                             ;   in Loop: Header=BB3_1458 Depth=2
	s_or_b64 exec, exec, s[16:17]
	v_readfirstlane_b32 s16, v2
	s_cmp_eq_u32 s16, 0
	s_cbranch_scc1 .LBB3_1457
; %bb.1456:                             ;   in Loop: Header=BB3_1458 Depth=2
	s_sleep 1
	s_cbranch_execnz .LBB3_1458
	s_branch .LBB3_1460
.LBB3_1457:                             ;   in Loop: Header=BB3_3 Depth=1
	s_branch .LBB3_1460
.LBB3_1458:                             ;   Parent Loop BB3_3 Depth=1
                                        ; =>  This Inner Loop Header: Depth=2
	v_mov_b32_e32 v2, 1
	s_and_saveexec_b64 s[16:17], s[4:5]
	s_cbranch_execz .LBB3_1455
; %bb.1459:                             ;   in Loop: Header=BB3_1458 Depth=2
	global_load_dword v2, v[8:9], off offset:20 glc
	s_waitcnt vmcnt(0)
	buffer_invl2
	buffer_wbinvl1_vol
	v_and_b32_e32 v2, 1, v2
	s_branch .LBB3_1455
.LBB3_1460:                             ;   in Loop: Header=BB3_3 Depth=1
	global_load_dwordx2 v[2:3], v[0:1], off
	s_and_saveexec_b64 s[16:17], s[4:5]
	s_cbranch_execz .LBB3_1464
; %bb.1461:                             ;   in Loop: Header=BB3_3 Depth=1
	global_load_dwordx2 v[0:1], v51, s[12:13] offset:40
	global_load_dwordx2 v[8:9], v51, s[12:13] offset:24 glc
	global_load_dwordx2 v[10:11], v51, s[12:13]
	v_mov_b32_e32 v5, s15
	s_waitcnt vmcnt(2)
	v_add_co_u32_e32 v7, vcc, 1, v0
	v_addc_co_u32_e32 v12, vcc, 0, v1, vcc
	v_add_co_u32_e32 v4, vcc, s14, v7
	v_addc_co_u32_e32 v5, vcc, v12, v5, vcc
	v_cmp_eq_u64_e32 vcc, 0, v[4:5]
	v_cndmask_b32_e32 v5, v5, v12, vcc
	v_cndmask_b32_e32 v4, v4, v7, vcc
	v_and_b32_e32 v1, v5, v1
	v_and_b32_e32 v0, v4, v0
	v_mul_lo_u32 v1, v1, 24
	v_mul_hi_u32 v7, v0, 24
	v_mul_lo_u32 v0, v0, 24
	v_add_u32_e32 v1, v7, v1
	s_waitcnt vmcnt(0)
	v_add_co_u32_e32 v0, vcc, v10, v0
	v_addc_co_u32_e32 v1, vcc, v11, v1, vcc
	v_mov_b32_e32 v6, v8
	global_store_dwordx2 v[0:1], v[8:9], off
	v_mov_b32_e32 v7, v9
	buffer_wbl2
	s_waitcnt vmcnt(0)
	global_atomic_cmpswap_x2 v[6:7], v51, v[4:7], s[12:13] offset:24 glc
	s_waitcnt vmcnt(0)
	v_cmp_ne_u64_e32 vcc, v[6:7], v[8:9]
	s_and_b64 exec, exec, vcc
	s_cbranch_execz .LBB3_1464
; %bb.1462:                             ;   in Loop: Header=BB3_3 Depth=1
	s_mov_b64 s[4:5], 0
.LBB3_1463:                             ;   Parent Loop BB3_3 Depth=1
                                        ; =>  This Inner Loop Header: Depth=2
	s_sleep 1
	global_store_dwordx2 v[0:1], v[6:7], off
	buffer_wbl2
	s_waitcnt vmcnt(0)
	global_atomic_cmpswap_x2 v[8:9], v51, v[4:7], s[12:13] offset:24 glc
	s_waitcnt vmcnt(0)
	v_cmp_eq_u64_e32 vcc, v[8:9], v[6:7]
	s_or_b64 s[4:5], vcc, s[4:5]
	v_pk_mov_b32 v[6:7], v[8:9], v[8:9] op_sel:[0,1]
	s_andn2_b64 exec, exec, s[4:5]
	s_cbranch_execnz .LBB3_1463
.LBB3_1464:                             ;   in Loop: Header=BB3_3 Depth=1
	s_or_b64 exec, exec, s[16:17]
.LBB3_1465:                             ;   in Loop: Header=BB3_3 Depth=1
	v_readfirstlane_b32 s4, v57
	v_cmp_eq_u32_e64 s[4:5], s4, v57
	s_waitcnt vmcnt(0)
	v_pk_mov_b32 v[0:1], 0, 0
	s_and_saveexec_b64 s[14:15], s[4:5]
	s_cbranch_execz .LBB3_1471
; %bb.1466:                             ;   in Loop: Header=BB3_3 Depth=1
	global_load_dwordx2 v[6:7], v51, s[12:13] offset:24 glc
	s_waitcnt vmcnt(0)
	buffer_invl2
	buffer_wbinvl1_vol
	global_load_dwordx2 v[0:1], v51, s[12:13] offset:40
	global_load_dwordx2 v[4:5], v51, s[12:13]
	s_waitcnt vmcnt(1)
	v_and_b32_e32 v0, v0, v6
	v_and_b32_e32 v1, v1, v7
	v_mul_lo_u32 v1, v1, 24
	v_mul_hi_u32 v8, v0, 24
	v_mul_lo_u32 v0, v0, 24
	v_add_u32_e32 v1, v8, v1
	s_waitcnt vmcnt(0)
	v_add_co_u32_e32 v0, vcc, v4, v0
	v_addc_co_u32_e32 v1, vcc, v5, v1, vcc
	global_load_dwordx2 v[4:5], v[0:1], off glc
	s_waitcnt vmcnt(0)
	global_atomic_cmpswap_x2 v[0:1], v51, v[4:7], s[12:13] offset:24 glc
	s_waitcnt vmcnt(0)
	buffer_invl2
	buffer_wbinvl1_vol
	v_cmp_ne_u64_e32 vcc, v[0:1], v[6:7]
	s_and_saveexec_b64 s[16:17], vcc
	s_cbranch_execz .LBB3_1470
; %bb.1467:                             ;   in Loop: Header=BB3_3 Depth=1
	s_mov_b64 s[18:19], 0
.LBB3_1468:                             ;   Parent Loop BB3_3 Depth=1
                                        ; =>  This Inner Loop Header: Depth=2
	s_sleep 1
	global_load_dwordx2 v[4:5], v51, s[12:13] offset:40
	global_load_dwordx2 v[8:9], v51, s[12:13]
	v_pk_mov_b32 v[6:7], v[0:1], v[0:1] op_sel:[0,1]
	s_waitcnt vmcnt(1)
	v_and_b32_e32 v0, v4, v6
	s_waitcnt vmcnt(0)
	v_mad_u64_u32 v[0:1], s[20:21], v0, 24, v[8:9]
	v_and_b32_e32 v5, v5, v7
	v_mov_b32_e32 v4, v1
	v_mad_u64_u32 v[4:5], s[20:21], v5, 24, v[4:5]
	v_mov_b32_e32 v1, v4
	global_load_dwordx2 v[4:5], v[0:1], off glc
	s_waitcnt vmcnt(0)
	global_atomic_cmpswap_x2 v[0:1], v51, v[4:7], s[12:13] offset:24 glc
	s_waitcnt vmcnt(0)
	buffer_invl2
	buffer_wbinvl1_vol
	v_cmp_eq_u64_e32 vcc, v[0:1], v[6:7]
	s_or_b64 s[18:19], vcc, s[18:19]
	s_andn2_b64 exec, exec, s[18:19]
	s_cbranch_execnz .LBB3_1468
; %bb.1469:                             ;   in Loop: Header=BB3_3 Depth=1
	s_or_b64 exec, exec, s[18:19]
.LBB3_1470:                             ;   in Loop: Header=BB3_3 Depth=1
	s_or_b64 exec, exec, s[16:17]
.LBB3_1471:                             ;   in Loop: Header=BB3_3 Depth=1
	s_or_b64 exec, exec, s[14:15]
	global_load_dwordx2 v[4:5], v51, s[12:13] offset:40
	global_load_dwordx4 v[6:9], v51, s[12:13]
	v_readfirstlane_b32 s14, v0
	v_readfirstlane_b32 s15, v1
	s_mov_b64 s[16:17], exec
	s_waitcnt vmcnt(1)
	v_readfirstlane_b32 s18, v4
	v_readfirstlane_b32 s19, v5
	s_and_b64 s[18:19], s[14:15], s[18:19]
	s_mul_i32 s20, s19, 24
	s_mul_hi_u32 s21, s18, 24
	s_mul_i32 s22, s18, 24
	s_add_i32 s20, s21, s20
	v_mov_b32_e32 v0, s20
	s_waitcnt vmcnt(0)
	v_add_co_u32_e32 v10, vcc, s22, v6
	v_addc_co_u32_e32 v11, vcc, v7, v0, vcc
	s_and_saveexec_b64 s[20:21], s[4:5]
	s_cbranch_execz .LBB3_1473
; %bb.1472:                             ;   in Loop: Header=BB3_3 Depth=1
	v_pk_mov_b32 v[40:41], s[16:17], s[16:17] op_sel:[0,1]
	global_store_dwordx4 v[10:11], v[40:43], off offset:8
.LBB3_1473:                             ;   in Loop: Header=BB3_3 Depth=1
	s_or_b64 exec, exec, s[20:21]
	s_lshl_b64 s[16:17], s[18:19], 12
	v_mov_b32_e32 v0, s17
	v_add_co_u32_e32 v8, vcc, s16, v8
	v_addc_co_u32_e32 v9, vcc, v9, v0, vcc
	v_and_or_b32 v2, v2, s71, 32
	v_mov_b32_e32 v4, v54
	v_mov_b32_e32 v5, v55
	v_readfirstlane_b32 s16, v8
	v_readfirstlane_b32 s17, v9
	s_mov_b32 s29, s28
	s_mov_b32 s30, s28
	;; [unrolled: 1-line block ×3, first 2 shown]
	s_nop 1
	global_store_dwordx4 v27, v[2:5], s[16:17]
	v_pk_mov_b32 v[0:1], s[28:29], s[28:29] op_sel:[0,1]
	v_pk_mov_b32 v[2:3], s[30:31], s[30:31] op_sel:[0,1]
	global_store_dwordx4 v27, v[0:3], s[16:17] offset:16
	global_store_dwordx4 v27, v[0:3], s[16:17] offset:32
	;; [unrolled: 1-line block ×3, first 2 shown]
	s_and_saveexec_b64 s[16:17], s[4:5]
	s_cbranch_execz .LBB3_1481
; %bb.1474:                             ;   in Loop: Header=BB3_3 Depth=1
	global_load_dwordx2 v[14:15], v51, s[12:13] offset:32 glc
	global_load_dwordx2 v[0:1], v51, s[12:13] offset:40
	v_mov_b32_e32 v12, s14
	v_mov_b32_e32 v13, s15
	s_waitcnt vmcnt(0)
	v_readfirstlane_b32 s18, v0
	v_readfirstlane_b32 s19, v1
	s_and_b64 s[18:19], s[18:19], s[14:15]
	s_mul_i32 s19, s19, 24
	s_mul_hi_u32 s20, s18, 24
	s_mul_i32 s18, s18, 24
	s_add_i32 s19, s20, s19
	v_mov_b32_e32 v0, s19
	v_add_co_u32_e32 v4, vcc, s18, v6
	v_addc_co_u32_e32 v5, vcc, v7, v0, vcc
	global_store_dwordx2 v[4:5], v[14:15], off
	buffer_wbl2
	s_waitcnt vmcnt(0)
	global_atomic_cmpswap_x2 v[2:3], v51, v[12:15], s[12:13] offset:32 glc
	s_waitcnt vmcnt(0)
	v_cmp_ne_u64_e32 vcc, v[2:3], v[14:15]
	s_and_saveexec_b64 s[18:19], vcc
	s_cbranch_execz .LBB3_1477
; %bb.1475:                             ;   in Loop: Header=BB3_3 Depth=1
	s_mov_b64 s[20:21], 0
.LBB3_1476:                             ;   Parent Loop BB3_3 Depth=1
                                        ; =>  This Inner Loop Header: Depth=2
	s_sleep 1
	global_store_dwordx2 v[4:5], v[2:3], off
	v_mov_b32_e32 v0, s14
	v_mov_b32_e32 v1, s15
	buffer_wbl2
	s_waitcnt vmcnt(0)
	global_atomic_cmpswap_x2 v[0:1], v51, v[0:3], s[12:13] offset:32 glc
	s_waitcnt vmcnt(0)
	v_cmp_eq_u64_e32 vcc, v[0:1], v[2:3]
	s_or_b64 s[20:21], vcc, s[20:21]
	v_pk_mov_b32 v[2:3], v[0:1], v[0:1] op_sel:[0,1]
	s_andn2_b64 exec, exec, s[20:21]
	s_cbranch_execnz .LBB3_1476
.LBB3_1477:                             ;   in Loop: Header=BB3_3 Depth=1
	s_or_b64 exec, exec, s[18:19]
	global_load_dwordx2 v[0:1], v51, s[12:13] offset:16
	s_mov_b64 s[20:21], exec
	v_mbcnt_lo_u32_b32 v2, s20, 0
	v_mbcnt_hi_u32_b32 v2, s21, v2
	v_cmp_eq_u32_e32 vcc, 0, v2
	s_and_saveexec_b64 s[18:19], vcc
	s_cbranch_execz .LBB3_1479
; %bb.1478:                             ;   in Loop: Header=BB3_3 Depth=1
	s_bcnt1_i32_b64 s20, s[20:21]
	v_mov_b32_e32 v50, s20
	buffer_wbl2
	s_waitcnt vmcnt(0)
	global_atomic_add_x2 v[0:1], v[50:51], off offset:8
.LBB3_1479:                             ;   in Loop: Header=BB3_3 Depth=1
	s_or_b64 exec, exec, s[18:19]
	s_waitcnt vmcnt(0)
	global_load_dwordx2 v[2:3], v[0:1], off offset:16
	s_waitcnt vmcnt(0)
	v_cmp_eq_u64_e32 vcc, 0, v[2:3]
	s_cbranch_vccnz .LBB3_1481
; %bb.1480:                             ;   in Loop: Header=BB3_3 Depth=1
	global_load_dword v50, v[0:1], off offset:24
	s_waitcnt vmcnt(0)
	v_and_b32_e32 v0, 0xffffff, v50
	v_readfirstlane_b32 m0, v0
	buffer_wbl2
	global_store_dwordx2 v[2:3], v[50:51], off
	s_sendmsg sendmsg(MSG_INTERRUPT)
.LBB3_1481:                             ;   in Loop: Header=BB3_3 Depth=1
	s_or_b64 exec, exec, s[16:17]
	v_add_co_u32_e32 v0, vcc, v8, v27
	v_addc_co_u32_e32 v1, vcc, 0, v9, vcc
	s_branch .LBB3_1485
.LBB3_1482:                             ;   in Loop: Header=BB3_1485 Depth=2
	s_or_b64 exec, exec, s[16:17]
	v_readfirstlane_b32 s16, v2
	s_cmp_eq_u32 s16, 0
	s_cbranch_scc1 .LBB3_1484
; %bb.1483:                             ;   in Loop: Header=BB3_1485 Depth=2
	s_sleep 1
	s_cbranch_execnz .LBB3_1485
	s_branch .LBB3_1487
.LBB3_1484:                             ;   in Loop: Header=BB3_3 Depth=1
	s_branch .LBB3_1487
.LBB3_1485:                             ;   Parent Loop BB3_3 Depth=1
                                        ; =>  This Inner Loop Header: Depth=2
	v_mov_b32_e32 v2, 1
	s_and_saveexec_b64 s[16:17], s[4:5]
	s_cbranch_execz .LBB3_1482
; %bb.1486:                             ;   in Loop: Header=BB3_1485 Depth=2
	global_load_dword v2, v[10:11], off offset:20 glc
	s_waitcnt vmcnt(0)
	buffer_invl2
	buffer_wbinvl1_vol
	v_and_b32_e32 v2, 1, v2
	s_branch .LBB3_1482
.LBB3_1487:                             ;   in Loop: Header=BB3_3 Depth=1
	global_load_dwordx2 v[4:5], v[0:1], off
	s_and_saveexec_b64 s[16:17], s[4:5]
	s_cbranch_execz .LBB3_1491
; %bb.1488:                             ;   in Loop: Header=BB3_3 Depth=1
	global_load_dwordx2 v[6:7], v51, s[12:13] offset:40
	global_load_dwordx2 v[8:9], v51, s[12:13] offset:24 glc
	global_load_dwordx2 v[10:11], v51, s[12:13]
	v_mov_b32_e32 v1, s15
	s_waitcnt vmcnt(2)
	v_add_co_u32_e32 v3, vcc, 1, v6
	v_addc_co_u32_e32 v12, vcc, 0, v7, vcc
	v_add_co_u32_e32 v0, vcc, s14, v3
	v_addc_co_u32_e32 v1, vcc, v12, v1, vcc
	v_cmp_eq_u64_e32 vcc, 0, v[0:1]
	v_cndmask_b32_e32 v1, v1, v12, vcc
	v_cndmask_b32_e32 v0, v0, v3, vcc
	v_and_b32_e32 v3, v1, v7
	v_and_b32_e32 v6, v0, v6
	v_mul_lo_u32 v3, v3, 24
	v_mul_hi_u32 v7, v6, 24
	v_mul_lo_u32 v6, v6, 24
	v_add_u32_e32 v3, v7, v3
	s_waitcnt vmcnt(0)
	v_add_co_u32_e32 v6, vcc, v10, v6
	v_addc_co_u32_e32 v7, vcc, v11, v3, vcc
	v_mov_b32_e32 v2, v8
	global_store_dwordx2 v[6:7], v[8:9], off
	v_mov_b32_e32 v3, v9
	buffer_wbl2
	s_waitcnt vmcnt(0)
	global_atomic_cmpswap_x2 v[2:3], v51, v[0:3], s[12:13] offset:24 glc
	s_waitcnt vmcnt(0)
	v_cmp_ne_u64_e32 vcc, v[2:3], v[8:9]
	s_and_b64 exec, exec, vcc
	s_cbranch_execz .LBB3_1491
; %bb.1489:                             ;   in Loop: Header=BB3_3 Depth=1
	s_mov_b64 s[4:5], 0
.LBB3_1490:                             ;   Parent Loop BB3_3 Depth=1
                                        ; =>  This Inner Loop Header: Depth=2
	s_sleep 1
	global_store_dwordx2 v[6:7], v[2:3], off
	buffer_wbl2
	s_waitcnt vmcnt(0)
	global_atomic_cmpswap_x2 v[8:9], v51, v[0:3], s[12:13] offset:24 glc
	s_waitcnt vmcnt(0)
	v_cmp_eq_u64_e32 vcc, v[8:9], v[2:3]
	s_or_b64 s[4:5], vcc, s[4:5]
	v_pk_mov_b32 v[2:3], v[8:9], v[8:9] op_sel:[0,1]
	s_andn2_b64 exec, exec, s[4:5]
	s_cbranch_execnz .LBB3_1490
.LBB3_1491:                             ;   in Loop: Header=BB3_3 Depth=1
	s_or_b64 exec, exec, s[16:17]
	v_readfirstlane_b32 s4, v57
	v_cmp_eq_u32_e64 s[4:5], s4, v57
	v_pk_mov_b32 v[6:7], 0, 0
	s_and_saveexec_b64 s[14:15], s[4:5]
	s_cbranch_execz .LBB3_1497
; %bb.1492:                             ;   in Loop: Header=BB3_3 Depth=1
	global_load_dwordx2 v[2:3], v51, s[12:13] offset:24 glc
	s_waitcnt vmcnt(0)
	buffer_invl2
	buffer_wbinvl1_vol
	global_load_dwordx2 v[0:1], v51, s[12:13] offset:40
	global_load_dwordx2 v[6:7], v51, s[12:13]
	s_waitcnt vmcnt(1)
	v_and_b32_e32 v0, v0, v2
	v_and_b32_e32 v1, v1, v3
	v_mul_lo_u32 v1, v1, 24
	v_mul_hi_u32 v8, v0, 24
	v_mul_lo_u32 v0, v0, 24
	v_add_u32_e32 v1, v8, v1
	s_waitcnt vmcnt(0)
	v_add_co_u32_e32 v0, vcc, v6, v0
	v_addc_co_u32_e32 v1, vcc, v7, v1, vcc
	global_load_dwordx2 v[0:1], v[0:1], off glc
	s_waitcnt vmcnt(0)
	global_atomic_cmpswap_x2 v[6:7], v51, v[0:3], s[12:13] offset:24 glc
	s_waitcnt vmcnt(0)
	buffer_invl2
	buffer_wbinvl1_vol
	v_cmp_ne_u64_e32 vcc, v[6:7], v[2:3]
	s_and_saveexec_b64 s[16:17], vcc
	s_cbranch_execz .LBB3_1496
; %bb.1493:                             ;   in Loop: Header=BB3_3 Depth=1
	s_mov_b64 s[18:19], 0
.LBB3_1494:                             ;   Parent Loop BB3_3 Depth=1
                                        ; =>  This Inner Loop Header: Depth=2
	s_sleep 1
	global_load_dwordx2 v[0:1], v51, s[12:13] offset:40
	global_load_dwordx2 v[8:9], v51, s[12:13]
	v_pk_mov_b32 v[2:3], v[6:7], v[6:7] op_sel:[0,1]
	s_waitcnt vmcnt(1)
	v_and_b32_e32 v0, v0, v2
	v_and_b32_e32 v7, v1, v3
	s_waitcnt vmcnt(0)
	v_mad_u64_u32 v[0:1], s[20:21], v0, 24, v[8:9]
	v_mov_b32_e32 v6, v1
	v_mad_u64_u32 v[6:7], s[20:21], v7, 24, v[6:7]
	v_mov_b32_e32 v1, v6
	global_load_dwordx2 v[0:1], v[0:1], off glc
	s_waitcnt vmcnt(0)
	global_atomic_cmpswap_x2 v[6:7], v51, v[0:3], s[12:13] offset:24 glc
	s_waitcnt vmcnt(0)
	buffer_invl2
	buffer_wbinvl1_vol
	v_cmp_eq_u64_e32 vcc, v[6:7], v[2:3]
	s_or_b64 s[18:19], vcc, s[18:19]
	s_andn2_b64 exec, exec, s[18:19]
	s_cbranch_execnz .LBB3_1494
; %bb.1495:                             ;   in Loop: Header=BB3_3 Depth=1
	s_or_b64 exec, exec, s[18:19]
.LBB3_1496:                             ;   in Loop: Header=BB3_3 Depth=1
	s_or_b64 exec, exec, s[16:17]
.LBB3_1497:                             ;   in Loop: Header=BB3_3 Depth=1
	s_or_b64 exec, exec, s[14:15]
	global_load_dwordx2 v[8:9], v51, s[12:13] offset:40
	global_load_dwordx4 v[0:3], v51, s[12:13]
	v_readfirstlane_b32 s14, v6
	v_readfirstlane_b32 s15, v7
	s_mov_b64 s[16:17], exec
	s_waitcnt vmcnt(1)
	v_readfirstlane_b32 s18, v8
	v_readfirstlane_b32 s19, v9
	s_and_b64 s[18:19], s[14:15], s[18:19]
	s_mul_i32 s20, s19, 24
	s_mul_hi_u32 s21, s18, 24
	s_mul_i32 s22, s18, 24
	s_add_i32 s20, s21, s20
	v_mov_b32_e32 v6, s20
	s_waitcnt vmcnt(0)
	v_add_co_u32_e32 v8, vcc, s22, v0
	v_addc_co_u32_e32 v9, vcc, v1, v6, vcc
	s_and_saveexec_b64 s[20:21], s[4:5]
	s_cbranch_execz .LBB3_1499
; %bb.1498:                             ;   in Loop: Header=BB3_3 Depth=1
	v_pk_mov_b32 v[40:41], s[16:17], s[16:17] op_sel:[0,1]
	global_store_dwordx4 v[8:9], v[40:43], off offset:8
.LBB3_1499:                             ;   in Loop: Header=BB3_3 Depth=1
	s_or_b64 exec, exec, s[20:21]
	s_lshl_b64 s[16:17], s[18:19], 12
	v_mov_b32_e32 v6, s17
	v_add_co_u32_e32 v10, vcc, s16, v2
	v_addc_co_u32_e32 v3, vcc, v3, v6, vcc
	v_add_u32_e32 v2, v28, v26
	v_and_or_b32 v4, v4, s71, 32
	v_mov_b32_e32 v6, v2
	v_mov_b32_e32 v7, v51
	v_readfirstlane_b32 s16, v10
	v_readfirstlane_b32 s17, v3
	s_mov_b32 s29, s28
	s_mov_b32 s30, s28
	;; [unrolled: 1-line block ×3, first 2 shown]
	s_nop 1
	global_store_dwordx4 v27, v[4:7], s[16:17]
	s_nop 0
	v_pk_mov_b32 v[4:5], s[28:29], s[28:29] op_sel:[0,1]
	v_pk_mov_b32 v[6:7], s[30:31], s[30:31] op_sel:[0,1]
	global_store_dwordx4 v27, v[4:7], s[16:17] offset:16
	global_store_dwordx4 v27, v[4:7], s[16:17] offset:32
	;; [unrolled: 1-line block ×3, first 2 shown]
	s_and_saveexec_b64 s[16:17], s[4:5]
	s_cbranch_execz .LBB3_1507
; %bb.1500:                             ;   in Loop: Header=BB3_3 Depth=1
	global_load_dwordx2 v[14:15], v51, s[12:13] offset:32 glc
	global_load_dwordx2 v[4:5], v51, s[12:13] offset:40
	v_mov_b32_e32 v12, s14
	v_mov_b32_e32 v13, s15
	s_waitcnt vmcnt(0)
	v_readfirstlane_b32 s18, v4
	v_readfirstlane_b32 s19, v5
	s_and_b64 s[18:19], s[18:19], s[14:15]
	s_mul_i32 s19, s19, 24
	s_mul_hi_u32 s20, s18, 24
	s_mul_i32 s18, s18, 24
	s_add_i32 s19, s20, s19
	v_mov_b32_e32 v4, s19
	v_add_co_u32_e32 v0, vcc, s18, v0
	v_addc_co_u32_e32 v1, vcc, v1, v4, vcc
	global_store_dwordx2 v[0:1], v[14:15], off
	buffer_wbl2
	s_waitcnt vmcnt(0)
	global_atomic_cmpswap_x2 v[6:7], v51, v[12:15], s[12:13] offset:32 glc
	s_waitcnt vmcnt(0)
	v_cmp_ne_u64_e32 vcc, v[6:7], v[14:15]
	s_and_saveexec_b64 s[18:19], vcc
	s_cbranch_execz .LBB3_1503
; %bb.1501:                             ;   in Loop: Header=BB3_3 Depth=1
	s_mov_b64 s[20:21], 0
.LBB3_1502:                             ;   Parent Loop BB3_3 Depth=1
                                        ; =>  This Inner Loop Header: Depth=2
	s_sleep 1
	global_store_dwordx2 v[0:1], v[6:7], off
	v_mov_b32_e32 v4, s14
	v_mov_b32_e32 v5, s15
	buffer_wbl2
	s_waitcnt vmcnt(0)
	global_atomic_cmpswap_x2 v[4:5], v51, v[4:7], s[12:13] offset:32 glc
	s_waitcnt vmcnt(0)
	v_cmp_eq_u64_e32 vcc, v[4:5], v[6:7]
	s_or_b64 s[20:21], vcc, s[20:21]
	v_pk_mov_b32 v[6:7], v[4:5], v[4:5] op_sel:[0,1]
	s_andn2_b64 exec, exec, s[20:21]
	s_cbranch_execnz .LBB3_1502
.LBB3_1503:                             ;   in Loop: Header=BB3_3 Depth=1
	s_or_b64 exec, exec, s[18:19]
	global_load_dwordx2 v[0:1], v51, s[12:13] offset:16
	s_mov_b64 s[20:21], exec
	v_mbcnt_lo_u32_b32 v4, s20, 0
	v_mbcnt_hi_u32_b32 v4, s21, v4
	v_cmp_eq_u32_e32 vcc, 0, v4
	s_and_saveexec_b64 s[18:19], vcc
	s_cbranch_execz .LBB3_1505
; %bb.1504:                             ;   in Loop: Header=BB3_3 Depth=1
	s_bcnt1_i32_b64 s20, s[20:21]
	v_mov_b32_e32 v4, s20
	v_mov_b32_e32 v5, v51
	buffer_wbl2
	s_waitcnt vmcnt(0)
	global_atomic_add_x2 v[0:1], v[4:5], off offset:8
.LBB3_1505:                             ;   in Loop: Header=BB3_3 Depth=1
	s_or_b64 exec, exec, s[18:19]
	s_waitcnt vmcnt(0)
	global_load_dwordx2 v[4:5], v[0:1], off offset:16
	s_waitcnt vmcnt(0)
	v_cmp_eq_u64_e32 vcc, 0, v[4:5]
	s_cbranch_vccnz .LBB3_1507
; %bb.1506:                             ;   in Loop: Header=BB3_3 Depth=1
	global_load_dword v0, v[0:1], off offset:24
	v_mov_b32_e32 v1, v51
	buffer_wbl2
	s_waitcnt vmcnt(0)
	global_store_dwordx2 v[4:5], v[0:1], off
	v_and_b32_e32 v0, 0xffffff, v0
	v_readfirstlane_b32 m0, v0
	s_sendmsg sendmsg(MSG_INTERRUPT)
.LBB3_1507:                             ;   in Loop: Header=BB3_3 Depth=1
	s_or_b64 exec, exec, s[16:17]
	v_add_co_u32_e32 v0, vcc, v10, v27
	v_addc_co_u32_e32 v1, vcc, 0, v3, vcc
	s_branch .LBB3_1511
.LBB3_1508:                             ;   in Loop: Header=BB3_1511 Depth=2
	s_or_b64 exec, exec, s[16:17]
	v_readfirstlane_b32 s16, v3
	s_cmp_eq_u32 s16, 0
	s_cbranch_scc1 .LBB3_1510
; %bb.1509:                             ;   in Loop: Header=BB3_1511 Depth=2
	s_sleep 1
	s_cbranch_execnz .LBB3_1511
	s_branch .LBB3_1513
.LBB3_1510:                             ;   in Loop: Header=BB3_3 Depth=1
	s_branch .LBB3_1513
.LBB3_1511:                             ;   Parent Loop BB3_3 Depth=1
                                        ; =>  This Inner Loop Header: Depth=2
	v_mov_b32_e32 v3, 1
	s_and_saveexec_b64 s[16:17], s[4:5]
	s_cbranch_execz .LBB3_1508
; %bb.1512:                             ;   in Loop: Header=BB3_1511 Depth=2
	global_load_dword v3, v[8:9], off offset:20 glc
	s_waitcnt vmcnt(0)
	buffer_invl2
	buffer_wbinvl1_vol
	v_and_b32_e32 v3, 1, v3
	s_branch .LBB3_1508
.LBB3_1513:                             ;   in Loop: Header=BB3_3 Depth=1
	global_load_dwordx2 v[0:1], v[0:1], off
	s_and_saveexec_b64 s[16:17], s[4:5]
	s_cbranch_execz .LBB3_1517
; %bb.1514:                             ;   in Loop: Header=BB3_3 Depth=1
	global_load_dwordx2 v[8:9], v51, s[12:13] offset:40
	global_load_dwordx2 v[10:11], v51, s[12:13] offset:24 glc
	global_load_dwordx2 v[12:13], v51, s[12:13]
	v_mov_b32_e32 v3, s15
	s_waitcnt vmcnt(2)
	v_add_co_u32_e32 v7, vcc, 1, v8
	v_addc_co_u32_e32 v14, vcc, 0, v9, vcc
	v_add_co_u32_e32 v4, vcc, s14, v7
	v_addc_co_u32_e32 v5, vcc, v14, v3, vcc
	v_cmp_eq_u64_e32 vcc, 0, v[4:5]
	v_cndmask_b32_e32 v5, v5, v14, vcc
	v_cndmask_b32_e32 v4, v4, v7, vcc
	v_and_b32_e32 v3, v5, v9
	v_and_b32_e32 v7, v4, v8
	v_mul_lo_u32 v3, v3, 24
	v_mul_hi_u32 v8, v7, 24
	v_mul_lo_u32 v7, v7, 24
	v_add_u32_e32 v3, v8, v3
	s_waitcnt vmcnt(0)
	v_add_co_u32_e32 v8, vcc, v12, v7
	v_addc_co_u32_e32 v9, vcc, v13, v3, vcc
	v_mov_b32_e32 v6, v10
	global_store_dwordx2 v[8:9], v[10:11], off
	v_mov_b32_e32 v7, v11
	buffer_wbl2
	s_waitcnt vmcnt(0)
	global_atomic_cmpswap_x2 v[6:7], v51, v[4:7], s[12:13] offset:24 glc
	s_waitcnt vmcnt(0)
	v_cmp_ne_u64_e32 vcc, v[6:7], v[10:11]
	s_and_b64 exec, exec, vcc
	s_cbranch_execz .LBB3_1517
; %bb.1515:                             ;   in Loop: Header=BB3_3 Depth=1
	s_mov_b64 s[4:5], 0
.LBB3_1516:                             ;   Parent Loop BB3_3 Depth=1
                                        ; =>  This Inner Loop Header: Depth=2
	s_sleep 1
	global_store_dwordx2 v[8:9], v[6:7], off
	buffer_wbl2
	s_waitcnt vmcnt(0)
	global_atomic_cmpswap_x2 v[10:11], v51, v[4:7], s[12:13] offset:24 glc
	s_waitcnt vmcnt(0)
	v_cmp_eq_u64_e32 vcc, v[10:11], v[6:7]
	s_or_b64 s[4:5], vcc, s[4:5]
	v_pk_mov_b32 v[6:7], v[10:11], v[10:11] op_sel:[0,1]
	s_andn2_b64 exec, exec, s[4:5]
	s_cbranch_execnz .LBB3_1516
.LBB3_1517:                             ;   in Loop: Header=BB3_3 Depth=1
	s_or_b64 exec, exec, s[16:17]
	v_readfirstlane_b32 s4, v57
	v_cmp_eq_u32_e64 s[4:5], s4, v57
	v_pk_mov_b32 v[8:9], 0, 0
	s_and_saveexec_b64 s[14:15], s[4:5]
	s_cbranch_execz .LBB3_1523
; %bb.1518:                             ;   in Loop: Header=BB3_3 Depth=1
	global_load_dwordx2 v[6:7], v51, s[12:13] offset:24 glc
	s_waitcnt vmcnt(0)
	buffer_invl2
	buffer_wbinvl1_vol
	global_load_dwordx2 v[4:5], v51, s[12:13] offset:40
	global_load_dwordx2 v[8:9], v51, s[12:13]
	s_waitcnt vmcnt(1)
	v_and_b32_e32 v3, v4, v6
	v_and_b32_e32 v4, v5, v7
	v_mul_lo_u32 v4, v4, 24
	v_mul_hi_u32 v5, v3, 24
	v_mul_lo_u32 v3, v3, 24
	v_add_u32_e32 v5, v5, v4
	s_waitcnt vmcnt(0)
	v_add_co_u32_e32 v4, vcc, v8, v3
	v_addc_co_u32_e32 v5, vcc, v9, v5, vcc
	global_load_dwordx2 v[4:5], v[4:5], off glc
	s_waitcnt vmcnt(0)
	global_atomic_cmpswap_x2 v[8:9], v51, v[4:7], s[12:13] offset:24 glc
	s_waitcnt vmcnt(0)
	buffer_invl2
	buffer_wbinvl1_vol
	v_cmp_ne_u64_e32 vcc, v[8:9], v[6:7]
	s_and_saveexec_b64 s[16:17], vcc
	s_cbranch_execz .LBB3_1522
; %bb.1519:                             ;   in Loop: Header=BB3_3 Depth=1
	s_mov_b64 s[18:19], 0
.LBB3_1520:                             ;   Parent Loop BB3_3 Depth=1
                                        ; =>  This Inner Loop Header: Depth=2
	s_sleep 1
	global_load_dwordx2 v[4:5], v51, s[12:13] offset:40
	global_load_dwordx2 v[10:11], v51, s[12:13]
	v_pk_mov_b32 v[6:7], v[8:9], v[8:9] op_sel:[0,1]
	s_waitcnt vmcnt(1)
	v_and_b32_e32 v4, v4, v6
	v_and_b32_e32 v3, v5, v7
	s_waitcnt vmcnt(0)
	v_mad_u64_u32 v[4:5], s[20:21], v4, 24, v[10:11]
	v_mov_b32_e32 v8, v5
	v_mad_u64_u32 v[8:9], s[20:21], v3, 24, v[8:9]
	v_mov_b32_e32 v5, v8
	global_load_dwordx2 v[4:5], v[4:5], off glc
	s_waitcnt vmcnt(0)
	global_atomic_cmpswap_x2 v[8:9], v51, v[4:7], s[12:13] offset:24 glc
	s_waitcnt vmcnt(0)
	buffer_invl2
	buffer_wbinvl1_vol
	v_cmp_eq_u64_e32 vcc, v[8:9], v[6:7]
	s_or_b64 s[18:19], vcc, s[18:19]
	s_andn2_b64 exec, exec, s[18:19]
	s_cbranch_execnz .LBB3_1520
; %bb.1521:                             ;   in Loop: Header=BB3_3 Depth=1
	s_or_b64 exec, exec, s[18:19]
.LBB3_1522:                             ;   in Loop: Header=BB3_3 Depth=1
	s_or_b64 exec, exec, s[16:17]
.LBB3_1523:                             ;   in Loop: Header=BB3_3 Depth=1
	s_or_b64 exec, exec, s[14:15]
	global_load_dwordx2 v[10:11], v51, s[12:13] offset:40
	global_load_dwordx4 v[4:7], v51, s[12:13]
	v_readfirstlane_b32 s14, v8
	v_readfirstlane_b32 s15, v9
	s_mov_b64 s[16:17], exec
	s_waitcnt vmcnt(1)
	v_readfirstlane_b32 s18, v10
	v_readfirstlane_b32 s19, v11
	s_and_b64 s[18:19], s[14:15], s[18:19]
	s_mul_i32 s20, s19, 24
	s_mul_hi_u32 s21, s18, 24
	s_mul_i32 s22, s18, 24
	s_add_i32 s20, s21, s20
	v_mov_b32_e32 v3, s20
	s_waitcnt vmcnt(0)
	v_add_co_u32_e32 v8, vcc, s22, v4
	v_addc_co_u32_e32 v9, vcc, v5, v3, vcc
	s_and_saveexec_b64 s[20:21], s[4:5]
	s_cbranch_execz .LBB3_1525
; %bb.1524:                             ;   in Loop: Header=BB3_3 Depth=1
	v_pk_mov_b32 v[40:41], s[16:17], s[16:17] op_sel:[0,1]
	global_store_dwordx4 v[8:9], v[40:43], off offset:8
.LBB3_1525:                             ;   in Loop: Header=BB3_3 Depth=1
	s_or_b64 exec, exec, s[20:21]
	s_lshl_b64 s[16:17], s[18:19], 12
	v_mov_b32_e32 v3, s17
	v_add_co_u32_e32 v6, vcc, s16, v6
	v_addc_co_u32_e32 v7, vcc, v7, v3, vcc
	v_and_or_b32 v0, v0, s72, 34
	v_mov_b32_e32 v3, v51
	v_readfirstlane_b32 s16, v6
	v_readfirstlane_b32 s17, v7
	s_mov_b32 s29, s28
	s_mov_b32 s30, s28
	;; [unrolled: 1-line block ×3, first 2 shown]
	s_nop 1
	global_store_dwordx4 v27, v[0:3], s[16:17]
	s_nop 0
	v_pk_mov_b32 v[0:1], s[28:29], s[28:29] op_sel:[0,1]
	v_pk_mov_b32 v[2:3], s[30:31], s[30:31] op_sel:[0,1]
	global_store_dwordx4 v27, v[0:3], s[16:17] offset:16
	global_store_dwordx4 v27, v[0:3], s[16:17] offset:32
	;; [unrolled: 1-line block ×3, first 2 shown]
	s_and_saveexec_b64 s[16:17], s[4:5]
	s_cbranch_execz .LBB3_1533
; %bb.1526:                             ;   in Loop: Header=BB3_3 Depth=1
	global_load_dwordx2 v[12:13], v51, s[12:13] offset:32 glc
	global_load_dwordx2 v[0:1], v51, s[12:13] offset:40
	v_mov_b32_e32 v10, s14
	v_mov_b32_e32 v11, s15
	s_waitcnt vmcnt(0)
	v_readfirstlane_b32 s18, v0
	v_readfirstlane_b32 s19, v1
	s_and_b64 s[18:19], s[18:19], s[14:15]
	s_mul_i32 s19, s19, 24
	s_mul_hi_u32 s20, s18, 24
	s_mul_i32 s18, s18, 24
	s_add_i32 s19, s20, s19
	v_mov_b32_e32 v0, s19
	v_add_co_u32_e32 v4, vcc, s18, v4
	v_addc_co_u32_e32 v5, vcc, v5, v0, vcc
	global_store_dwordx2 v[4:5], v[12:13], off
	buffer_wbl2
	s_waitcnt vmcnt(0)
	global_atomic_cmpswap_x2 v[2:3], v51, v[10:13], s[12:13] offset:32 glc
	s_waitcnt vmcnt(0)
	v_cmp_ne_u64_e32 vcc, v[2:3], v[12:13]
	s_and_saveexec_b64 s[18:19], vcc
	s_cbranch_execz .LBB3_1529
; %bb.1527:                             ;   in Loop: Header=BB3_3 Depth=1
	s_mov_b64 s[20:21], 0
.LBB3_1528:                             ;   Parent Loop BB3_3 Depth=1
                                        ; =>  This Inner Loop Header: Depth=2
	s_sleep 1
	global_store_dwordx2 v[4:5], v[2:3], off
	v_mov_b32_e32 v0, s14
	v_mov_b32_e32 v1, s15
	buffer_wbl2
	s_waitcnt vmcnt(0)
	global_atomic_cmpswap_x2 v[0:1], v51, v[0:3], s[12:13] offset:32 glc
	s_waitcnt vmcnt(0)
	v_cmp_eq_u64_e32 vcc, v[0:1], v[2:3]
	s_or_b64 s[20:21], vcc, s[20:21]
	v_pk_mov_b32 v[2:3], v[0:1], v[0:1] op_sel:[0,1]
	s_andn2_b64 exec, exec, s[20:21]
	s_cbranch_execnz .LBB3_1528
.LBB3_1529:                             ;   in Loop: Header=BB3_3 Depth=1
	s_or_b64 exec, exec, s[18:19]
	global_load_dwordx2 v[0:1], v51, s[12:13] offset:16
	s_mov_b64 s[20:21], exec
	v_mbcnt_lo_u32_b32 v2, s20, 0
	v_mbcnt_hi_u32_b32 v2, s21, v2
	v_cmp_eq_u32_e32 vcc, 0, v2
	s_and_saveexec_b64 s[18:19], vcc
	s_cbranch_execz .LBB3_1531
; %bb.1530:                             ;   in Loop: Header=BB3_3 Depth=1
	s_bcnt1_i32_b64 s20, s[20:21]
	v_mov_b32_e32 v50, s20
	buffer_wbl2
	s_waitcnt vmcnt(0)
	global_atomic_add_x2 v[0:1], v[50:51], off offset:8
.LBB3_1531:                             ;   in Loop: Header=BB3_3 Depth=1
	s_or_b64 exec, exec, s[18:19]
	s_waitcnt vmcnt(0)
	global_load_dwordx2 v[2:3], v[0:1], off offset:16
	s_waitcnt vmcnt(0)
	v_cmp_eq_u64_e32 vcc, 0, v[2:3]
	s_cbranch_vccnz .LBB3_1533
; %bb.1532:                             ;   in Loop: Header=BB3_3 Depth=1
	global_load_dword v50, v[0:1], off offset:24
	s_waitcnt vmcnt(0)
	v_and_b32_e32 v0, 0xffffff, v50
	v_readfirstlane_b32 m0, v0
	buffer_wbl2
	global_store_dwordx2 v[2:3], v[50:51], off
	s_sendmsg sendmsg(MSG_INTERRUPT)
.LBB3_1533:                             ;   in Loop: Header=BB3_3 Depth=1
	s_or_b64 exec, exec, s[16:17]
	v_add_co_u32_e32 v0, vcc, v6, v27
	v_addc_co_u32_e32 v1, vcc, 0, v7, vcc
	s_branch .LBB3_1537
.LBB3_1534:                             ;   in Loop: Header=BB3_1537 Depth=2
	s_or_b64 exec, exec, s[16:17]
	v_readfirstlane_b32 s16, v2
	s_cmp_eq_u32 s16, 0
	s_cbranch_scc1 .LBB3_1536
; %bb.1535:                             ;   in Loop: Header=BB3_1537 Depth=2
	s_sleep 1
	s_cbranch_execnz .LBB3_1537
	s_branch .LBB3_1539
.LBB3_1536:                             ;   in Loop: Header=BB3_3 Depth=1
	s_branch .LBB3_1539
.LBB3_1537:                             ;   Parent Loop BB3_3 Depth=1
                                        ; =>  This Inner Loop Header: Depth=2
	v_mov_b32_e32 v2, 1
	s_and_saveexec_b64 s[16:17], s[4:5]
	s_cbranch_execz .LBB3_1534
; %bb.1538:                             ;   in Loop: Header=BB3_1537 Depth=2
	global_load_dword v2, v[8:9], off offset:20 glc
	s_waitcnt vmcnt(0)
	buffer_invl2
	buffer_wbinvl1_vol
	v_and_b32_e32 v2, 1, v2
	s_branch .LBB3_1534
.LBB3_1539:                             ;   in Loop: Header=BB3_3 Depth=1
	global_load_dwordx2 v[0:1], v[0:1], off
	s_and_saveexec_b64 s[16:17], s[4:5]
	s_cbranch_execz .LBB3_1543
; %bb.1540:                             ;   in Loop: Header=BB3_3 Depth=1
	global_load_dwordx2 v[6:7], v51, s[12:13] offset:40
	global_load_dwordx2 v[8:9], v51, s[12:13] offset:24 glc
	global_load_dwordx2 v[10:11], v51, s[12:13]
	s_waitcnt vmcnt(3)
	v_mov_b32_e32 v1, s15
	s_waitcnt vmcnt(2)
	v_add_co_u32_e32 v5, vcc, 1, v6
	v_addc_co_u32_e32 v12, vcc, 0, v7, vcc
	v_add_co_u32_e32 v2, vcc, s14, v5
	v_addc_co_u32_e32 v3, vcc, v12, v1, vcc
	v_cmp_eq_u64_e32 vcc, 0, v[2:3]
	v_cndmask_b32_e32 v3, v3, v12, vcc
	v_cndmask_b32_e32 v2, v2, v5, vcc
	v_and_b32_e32 v1, v3, v7
	v_and_b32_e32 v5, v2, v6
	v_mul_lo_u32 v1, v1, 24
	v_mul_hi_u32 v6, v5, 24
	v_mul_lo_u32 v5, v5, 24
	v_add_u32_e32 v1, v6, v1
	s_waitcnt vmcnt(0)
	v_add_co_u32_e32 v6, vcc, v10, v5
	v_addc_co_u32_e32 v7, vcc, v11, v1, vcc
	v_mov_b32_e32 v4, v8
	global_store_dwordx2 v[6:7], v[8:9], off
	v_mov_b32_e32 v5, v9
	buffer_wbl2
	s_waitcnt vmcnt(0)
	global_atomic_cmpswap_x2 v[4:5], v51, v[2:5], s[12:13] offset:24 glc
	s_waitcnt vmcnt(0)
	v_cmp_ne_u64_e32 vcc, v[4:5], v[8:9]
	s_and_b64 exec, exec, vcc
	s_cbranch_execz .LBB3_1543
; %bb.1541:                             ;   in Loop: Header=BB3_3 Depth=1
	s_mov_b64 s[4:5], 0
.LBB3_1542:                             ;   Parent Loop BB3_3 Depth=1
                                        ; =>  This Inner Loop Header: Depth=2
	s_sleep 1
	global_store_dwordx2 v[6:7], v[4:5], off
	buffer_wbl2
	s_waitcnt vmcnt(0)
	global_atomic_cmpswap_x2 v[8:9], v51, v[2:5], s[12:13] offset:24 glc
	s_waitcnt vmcnt(0)
	v_cmp_eq_u64_e32 vcc, v[8:9], v[4:5]
	s_or_b64 s[4:5], vcc, s[4:5]
	v_pk_mov_b32 v[4:5], v[8:9], v[8:9] op_sel:[0,1]
	s_andn2_b64 exec, exec, s[4:5]
	s_cbranch_execnz .LBB3_1542
.LBB3_1543:                             ;   in Loop: Header=BB3_3 Depth=1
	s_or_b64 exec, exec, s[16:17]
.LBB3_1544:                             ;   in Loop: Header=BB3_3 Depth=1
	s_or_b64 exec, exec, s[10:11]
.LBB3_1545:                             ;   in Loop: Header=BB3_3 Depth=1
	s_or_b64 exec, exec, s[8:9]
.LBB3_1546:                             ;   in Loop: Header=BB3_3 Depth=1
	s_or_b64 exec, exec, s[6:7]
	s_waitcnt vmcnt(0)
	v_add_u32_e32 v49, v23, v0
	s_mov_b32 s25, 0
	s_getpc_b64 s[4:5]
	s_add_u32 s4, s4, .str.13@rel32@lo+4
	s_addc_u32 s5, s5, .str.13@rel32@hi+12
.LBB3_1547:                             ;   Parent Loop BB3_3 Depth=1
                                        ; =>  This Loop Header: Depth=2
                                        ;       Child Loop BB3_1572 Depth 3
	s_add_i32 s6, s25, -6
	s_cmp_lt_u32 s25, 6
	s_cselect_b32 s29, s25, s6
	s_cmp_lt_i32 s29, 3
	s_cbranch_scc1 .LBB3_1553
; %bb.1548:                             ;   in Loop: Header=BB3_1547 Depth=2
	s_cmp_gt_i32 s29, 3
	s_cbranch_scc0 .LBB3_1554
; %bb.1549:                             ;   in Loop: Header=BB3_1547 Depth=2
	s_cmp_gt_i32 s29, 4
	s_cbranch_scc0 .LBB3_1555
; %bb.1550:                             ;   in Loop: Header=BB3_1547 Depth=2
	s_cmp_eq_u32 s29, 5
	s_mov_b64 s[6:7], -1
                                        ; implicit-def: $sgpr54_sgpr55
	s_cbranch_scc0 .LBB3_1552
; %bb.1551:                             ;   in Loop: Header=BB3_1547 Depth=2
	s_mov_b64 s[6:7], 0
	s_getpc_b64 s[54:55]
	s_add_u32 s54, s54, .str.11@rel32@lo+4
	s_addc_u32 s55, s55, .str.11@rel32@hi+12
.LBB3_1552:                             ;   in Loop: Header=BB3_1547 Depth=2
	s_branch .LBB3_1557
.LBB3_1553:                             ;   in Loop: Header=BB3_1547 Depth=2
	s_mov_b64 s[6:7], 0
                                        ; implicit-def: $sgpr54_sgpr55
	s_cbranch_execnz .LBB3_1560
	s_branch .LBB3_1568
.LBB3_1554:                             ;   in Loop: Header=BB3_1547 Depth=2
	s_mov_b64 s[6:7], 0
                                        ; implicit-def: $sgpr54_sgpr55
	s_cbranch_execnz .LBB3_1558
	s_branch .LBB3_1559
.LBB3_1555:                             ;   in Loop: Header=BB3_1547 Depth=2
	s_mov_b64 s[6:7], 0
                                        ; implicit-def: $sgpr54_sgpr55
	s_cbranch_execz .LBB3_1557
; %bb.1556:                             ;   in Loop: Header=BB3_1547 Depth=2
	s_getpc_b64 s[54:55]
	s_add_u32 s54, s54, .str.10@rel32@lo+4
	s_addc_u32 s55, s55, .str.10@rel32@hi+12
.LBB3_1557:                             ;   in Loop: Header=BB3_1547 Depth=2
	s_branch .LBB3_1559
.LBB3_1558:                             ;   in Loop: Header=BB3_1547 Depth=2
	s_getpc_b64 s[54:55]
	s_add_u32 s54, s54, .str.9@rel32@lo+4
	s_addc_u32 s55, s55, .str.9@rel32@hi+12
.LBB3_1559:                             ;   in Loop: Header=BB3_1547 Depth=2
	s_branch .LBB3_1568
.LBB3_1560:                             ;   in Loop: Header=BB3_1547 Depth=2
	s_cmp_gt_i32 s29, 0
	s_mov_b64 s[8:9], -1
                                        ; implicit-def: $sgpr54_sgpr55
	s_cbranch_scc0 .LBB3_1566
; %bb.1561:                             ;   in Loop: Header=BB3_1547 Depth=2
	s_cmp_gt_i32 s29, 1
                                        ; implicit-def: $sgpr54_sgpr55
	s_cbranch_scc0 .LBB3_1563
; %bb.1562:                             ;   in Loop: Header=BB3_1547 Depth=2
	s_mov_b64 s[8:9], 0
	s_getpc_b64 s[54:55]
	s_add_u32 s54, s54, .str.8@rel32@lo+4
	s_addc_u32 s55, s55, .str.8@rel32@hi+12
.LBB3_1563:                             ;   in Loop: Header=BB3_1547 Depth=2
	s_andn2_b64 vcc, exec, s[8:9]
	s_cbranch_vccnz .LBB3_1565
; %bb.1564:                             ;   in Loop: Header=BB3_1547 Depth=2
	s_getpc_b64 s[54:55]
	s_add_u32 s54, s54, .str.7@rel32@lo+4
	s_addc_u32 s55, s55, .str.7@rel32@hi+12
.LBB3_1565:                             ;   in Loop: Header=BB3_1547 Depth=2
	s_mov_b64 s[8:9], 0
.LBB3_1566:                             ;   in Loop: Header=BB3_1547 Depth=2
	s_andn2_b64 vcc, exec, s[8:9]
	s_cbranch_vccnz .LBB3_1568
; %bb.1567:                             ;   in Loop: Header=BB3_1547 Depth=2
	s_getpc_b64 s[54:55]
	s_add_u32 s54, s54, .str.6@rel32@lo+4
	s_addc_u32 s55, s55, .str.6@rel32@hi+12
	s_cmp_lg_u32 s29, 0
	s_cselect_b64 s[6:7], -1, 0
.LBB3_1568:                             ;   in Loop: Header=BB3_1547 Depth=2
	s_and_b64 vcc, exec, s[6:7]
	s_cbranch_vccz .LBB3_1570
; %bb.1569:                             ;   in Loop: Header=BB3_1547 Depth=2
	s_mov_b64 s[54:55], s[4:5]
.LBB3_1570:                             ;   in Loop: Header=BB3_1547 Depth=2
	s_mov_b64 s[8:9], s[26:27]
	s_getpc_b64 s[4:5]
	s_add_u32 s4, s4, __ockl_printf_begin@rel32@lo+4
	s_addc_u32 s5, s5, __ockl_printf_begin@rel32@hi+12
	s_swappc_b64 s[30:31], s[4:5]
	s_getpc_b64 s[4:5]
	s_add_u32 s4, s4, .str.12@rel32@lo+4
	s_addc_u32 s5, s5, .str.12@rel32@hi+12
	s_mov_b64 s[8:9], s[26:27]
	v_mov_b32_e32 v2, s4
	v_mov_b32_e32 v3, s5
	;; [unrolled: 1-line block ×4, first 2 shown]
	s_getpc_b64 s[6:7]
	s_add_u32 s6, s6, __ockl_printf_append_string_n@rel32@lo+4
	s_addc_u32 s7, s7, __ockl_printf_append_string_n@rel32@hi+12
	s_swappc_b64 s[30:31], s[6:7]
	s_mov_b64 s[8:9], s[26:27]
	v_mov_b32_e32 v2, v54
	v_mov_b32_e32 v3, v51
	;; [unrolled: 1-line block ×3, first 2 shown]
	s_getpc_b64 s[4:5]
	s_add_u32 s4, s4, __ockl_printf_append_args@rel32@lo+4
	s_addc_u32 s5, s5, __ockl_printf_append_args@rel32@hi+12
	s_swappc_b64 s[30:31], s[4:5]
	s_cmp_eq_u64 s[54:55], 0
	s_mov_b64 s[4:5], 0
	s_cbranch_scc1 .LBB3_1574
; %bb.1571:                             ;   in Loop: Header=BB3_1547 Depth=2
	s_add_u32 s4, s54, -1
	s_addc_u32 s5, s55, -1
.LBB3_1572:                             ;   Parent Loop BB3_3 Depth=1
                                        ;     Parent Loop BB3_1547 Depth=2
                                        ; =>    This Inner Loop Header: Depth=3
	global_load_ubyte v2, v51, s[4:5] offset:1
	s_add_u32 s6, s4, 1
	s_addc_u32 s7, s5, 0
	s_mov_b64 s[4:5], s[6:7]
	s_waitcnt vmcnt(0)
	v_cmp_ne_u16_e32 vcc, 0, v2
	s_cbranch_vccnz .LBB3_1572
; %bb.1573:                             ;   in Loop: Header=BB3_1547 Depth=2
	s_sub_u32 s4, s6, s54
	s_subb_u32 s5, s7, s55
	s_add_u32 s4, s4, 1
	s_addc_u32 s5, s5, 0
.LBB3_1574:                             ;   in Loop: Header=BB3_1547 Depth=2
	s_mov_b64 s[8:9], s[26:27]
	v_mov_b32_e32 v2, s54
	v_mov_b32_e32 v3, s55
	;; [unrolled: 1-line block ×4, first 2 shown]
	s_getpc_b64 s[52:53]
	s_add_u32 s52, s52, __ockl_printf_append_string_n@rel32@lo+4
	s_addc_u32 s53, s53, __ockl_printf_append_string_n@rel32@hi+12
	s_swappc_b64 s[30:31], s[52:53]
	s_mov_b64 s[8:9], s[26:27]
	v_mov_b32_e32 v2, s29
	v_mov_b32_e32 v3, v51
	;; [unrolled: 1-line block ×3, first 2 shown]
	s_getpc_b64 s[50:51]
	s_add_u32 s50, s50, __ockl_printf_append_args@rel32@lo+4
	s_addc_u32 s51, s51, __ockl_printf_append_args@rel32@hi+12
	s_swappc_b64 s[30:31], s[50:51]
	s_add_i32 s25, s25, 1
	s_cmp_eq_u32 s25, 12
	v_add_u32_e32 v49, v49, v0
	s_cbranch_scc1 .LBB3_2
; %bb.1575:                             ;   in Loop: Header=BB3_1547 Depth=2
	s_mov_b64 s[4:5], s[54:55]
	s_branch .LBB3_1547
.LBB3_1576:
	s_or_b64 exec, exec, s[34:35]
	v_readlane_b32 s30, v58, 40
	v_readlane_b32 s31, v58, 41
	;; [unrolled: 1-line block ×42, first 2 shown]
	v_accvgpr_read_b32 v57, a9              ;  Reload Reuse
	v_accvgpr_read_b32 v56, a8              ;  Reload Reuse
	;; [unrolled: 1-line block ×10, first 2 shown]
	v_readlane_b32 s4, v58, 42
	s_or_saveexec_b64 s[6:7], -1
	buffer_load_dword v58, off, s[0:3], s33 ; 4-byte Folded Reload
	s_mov_b64 exec, s[6:7]
	s_addk_i32 s32, 0xfc00
	s_mov_b32 s33, s4
	s_waitcnt vmcnt(0)
	s_setpc_b64 s[30:31]
.Lfunc_end3:
	.size	_ZN19hipPrintfStressTest10startPrintEjjPjS0_, .Lfunc_end3-_ZN19hipPrintfStressTest10startPrintEjjPjS0_
                                        ; -- End function
	.section	.AMDGPU.csdata,"",@progbits
; Function info:
; codeLenInByte = 64932
; NumSgprs: 78
; NumVgprs: 59
; NumAgprs: 10
; TotalNumVgprs: 70
; ScratchSize: 16
; MemoryBound: 0
	.text
	.protected	_ZN19hipPrintfStressTest18kernel_complex_opXEPjS0_j ; -- Begin function _ZN19hipPrintfStressTest18kernel_complex_opXEPjS0_j
	.globl	_ZN19hipPrintfStressTest18kernel_complex_opXEPjS0_j
	.p2align	8
	.type	_ZN19hipPrintfStressTest18kernel_complex_opXEPjS0_j,@function
_ZN19hipPrintfStressTest18kernel_complex_opXEPjS0_j: ; @_ZN19hipPrintfStressTest18kernel_complex_opXEPjS0_j
; %bb.0:
	s_add_u32 flat_scratch_lo, s6, s9
	s_addc_u32 flat_scratch_hi, s7, 0
	s_load_dword s6, s[4:5], 0x24
	s_load_dwordx4 s[12:15], s[4:5], 0x0
	s_load_dword s7, s[4:5], 0x10
	s_add_u32 s0, s0, s9
	s_addc_u32 s1, s1, 0
	s_waitcnt lgkmcnt(0)
	s_and_b32 s6, s6, 0xffff
	s_mul_i32 s8, s8, s6
	v_add_u32_e32 v0, s8, v0
	s_add_u32 s8, s4, 24
	s_addc_u32 s9, s5, 0
	v_mov_b32_e32 v1, s7
	v_mov_b32_e32 v2, s12
	;; [unrolled: 1-line block ×5, first 2 shown]
	s_mov_b32 s32, 0
	s_getpc_b64 s[4:5]
	s_add_u32 s4, s4, _ZN19hipPrintfStressTest10startPrintEjjPjS0_@rel32@lo+4
	s_addc_u32 s5, s5, _ZN19hipPrintfStressTest10startPrintEjjPjS0_@rel32@hi+12
	s_swappc_b64 s[30:31], s[4:5]
	s_endpgm
	.section	.rodata,"a",@progbits
	.p2align	6, 0x0
	.amdhsa_kernel _ZN19hipPrintfStressTest18kernel_complex_opXEPjS0_j
		.amdhsa_group_segment_fixed_size 0
		.amdhsa_private_segment_fixed_size 16
		.amdhsa_kernarg_size 280
		.amdhsa_user_sgpr_count 8
		.amdhsa_user_sgpr_private_segment_buffer 1
		.amdhsa_user_sgpr_dispatch_ptr 0
		.amdhsa_user_sgpr_queue_ptr 0
		.amdhsa_user_sgpr_kernarg_segment_ptr 1
		.amdhsa_user_sgpr_dispatch_id 0
		.amdhsa_user_sgpr_flat_scratch_init 1
		.amdhsa_user_sgpr_kernarg_preload_length 0
		.amdhsa_user_sgpr_kernarg_preload_offset 0
		.amdhsa_user_sgpr_private_segment_size 0
		.amdhsa_uses_dynamic_stack 0
		.amdhsa_system_sgpr_private_segment_wavefront_offset 1
		.amdhsa_system_sgpr_workgroup_id_x 1
		.amdhsa_system_sgpr_workgroup_id_y 0
		.amdhsa_system_sgpr_workgroup_id_z 0
		.amdhsa_system_sgpr_workgroup_info 0
		.amdhsa_system_vgpr_workitem_id 0
		.amdhsa_next_free_vgpr 70
		.amdhsa_next_free_sgpr 74
		.amdhsa_accum_offset 60
		.amdhsa_reserve_vcc 1
		.amdhsa_reserve_flat_scratch 1
		.amdhsa_float_round_mode_32 0
		.amdhsa_float_round_mode_16_64 0
		.amdhsa_float_denorm_mode_32 3
		.amdhsa_float_denorm_mode_16_64 3
		.amdhsa_dx10_clamp 1
		.amdhsa_ieee_mode 1
		.amdhsa_fp16_overflow 0
		.amdhsa_tg_split 0
		.amdhsa_exception_fp_ieee_invalid_op 0
		.amdhsa_exception_fp_denorm_src 0
		.amdhsa_exception_fp_ieee_div_zero 0
		.amdhsa_exception_fp_ieee_overflow 0
		.amdhsa_exception_fp_ieee_underflow 0
		.amdhsa_exception_fp_ieee_inexact 0
		.amdhsa_exception_int_div_zero 0
	.end_amdhsa_kernel
	.text
.Lfunc_end4:
	.size	_ZN19hipPrintfStressTest18kernel_complex_opXEPjS0_j, .Lfunc_end4-_ZN19hipPrintfStressTest18kernel_complex_opXEPjS0_j
                                        ; -- End function
	.section	.AMDGPU.csdata,"",@progbits
; Kernel info:
; codeLenInByte = 120
; NumSgprs: 80
; NumVgprs: 59
; NumAgprs: 10
; TotalNumVgprs: 70
; ScratchSize: 16
; MemoryBound: 0
; FloatMode: 240
; IeeeMode: 1
; LDSByteSize: 0 bytes/workgroup (compile time only)
; SGPRBlocks: 9
; VGPRBlocks: 8
; NumSGPRsForWavesPerEU: 80
; NumVGPRsForWavesPerEU: 70
; AccumOffset: 60
; Occupancy: 7
; WaveLimiterHint : 1
; COMPUTE_PGM_RSRC2:SCRATCH_EN: 1
; COMPUTE_PGM_RSRC2:USER_SGPR: 8
; COMPUTE_PGM_RSRC2:TRAP_HANDLER: 0
; COMPUTE_PGM_RSRC2:TGID_X_EN: 1
; COMPUTE_PGM_RSRC2:TGID_Y_EN: 0
; COMPUTE_PGM_RSRC2:TGID_Z_EN: 0
; COMPUTE_PGM_RSRC2:TIDIG_COMP_CNT: 0
; COMPUTE_PGM_RSRC3_GFX90A:ACCUM_OFFSET: 14
; COMPUTE_PGM_RSRC3_GFX90A:TG_SPLIT: 0
	.text
	.protected	_ZN19hipPrintfStressTest18kernel_complex_opYEPjS0_j ; -- Begin function _ZN19hipPrintfStressTest18kernel_complex_opYEPjS0_j
	.globl	_ZN19hipPrintfStressTest18kernel_complex_opYEPjS0_j
	.p2align	8
	.type	_ZN19hipPrintfStressTest18kernel_complex_opYEPjS0_j,@function
_ZN19hipPrintfStressTest18kernel_complex_opYEPjS0_j: ; @_ZN19hipPrintfStressTest18kernel_complex_opYEPjS0_j
; %bb.0:
	s_add_u32 flat_scratch_lo, s6, s10
	s_addc_u32 flat_scratch_hi, s7, 0
	s_load_dword s6, s[4:5], 0x24
	s_load_dwordx4 s[12:15], s[4:5], 0x0
	s_load_dword s7, s[4:5], 0x10
	s_add_u32 s0, s0, s10
	s_addc_u32 s1, s1, 0
	s_waitcnt lgkmcnt(0)
	s_lshr_b32 s6, s6, 16
	s_mul_i32 s9, s9, s6
	v_bfe_u32 v0, v0, 10, 10
	s_add_u32 s8, s4, 24
	v_add_u32_e32 v0, s9, v0
	s_addc_u32 s9, s5, 0
	v_mov_b32_e32 v1, s7
	v_mov_b32_e32 v2, s12
	;; [unrolled: 1-line block ×5, first 2 shown]
	s_mov_b32 s32, 0
	s_getpc_b64 s[4:5]
	s_add_u32 s4, s4, _ZN19hipPrintfStressTest10startPrintEjjPjS0_@rel32@lo+4
	s_addc_u32 s5, s5, _ZN19hipPrintfStressTest10startPrintEjjPjS0_@rel32@hi+12
	s_swappc_b64 s[30:31], s[4:5]
	s_endpgm
	.section	.rodata,"a",@progbits
	.p2align	6, 0x0
	.amdhsa_kernel _ZN19hipPrintfStressTest18kernel_complex_opYEPjS0_j
		.amdhsa_group_segment_fixed_size 0
		.amdhsa_private_segment_fixed_size 16
		.amdhsa_kernarg_size 280
		.amdhsa_user_sgpr_count 8
		.amdhsa_user_sgpr_private_segment_buffer 1
		.amdhsa_user_sgpr_dispatch_ptr 0
		.amdhsa_user_sgpr_queue_ptr 0
		.amdhsa_user_sgpr_kernarg_segment_ptr 1
		.amdhsa_user_sgpr_dispatch_id 0
		.amdhsa_user_sgpr_flat_scratch_init 1
		.amdhsa_user_sgpr_kernarg_preload_length 0
		.amdhsa_user_sgpr_kernarg_preload_offset 0
		.amdhsa_user_sgpr_private_segment_size 0
		.amdhsa_uses_dynamic_stack 0
		.amdhsa_system_sgpr_private_segment_wavefront_offset 1
		.amdhsa_system_sgpr_workgroup_id_x 1
		.amdhsa_system_sgpr_workgroup_id_y 1
		.amdhsa_system_sgpr_workgroup_id_z 0
		.amdhsa_system_sgpr_workgroup_info 0
		.amdhsa_system_vgpr_workitem_id 1
		.amdhsa_next_free_vgpr 70
		.amdhsa_next_free_sgpr 74
		.amdhsa_accum_offset 60
		.amdhsa_reserve_vcc 1
		.amdhsa_reserve_flat_scratch 1
		.amdhsa_float_round_mode_32 0
		.amdhsa_float_round_mode_16_64 0
		.amdhsa_float_denorm_mode_32 3
		.amdhsa_float_denorm_mode_16_64 3
		.amdhsa_dx10_clamp 1
		.amdhsa_ieee_mode 1
		.amdhsa_fp16_overflow 0
		.amdhsa_tg_split 0
		.amdhsa_exception_fp_ieee_invalid_op 0
		.amdhsa_exception_fp_denorm_src 0
		.amdhsa_exception_fp_ieee_div_zero 0
		.amdhsa_exception_fp_ieee_overflow 0
		.amdhsa_exception_fp_ieee_underflow 0
		.amdhsa_exception_fp_ieee_inexact 0
		.amdhsa_exception_int_div_zero 0
	.end_amdhsa_kernel
	.text
.Lfunc_end5:
	.size	_ZN19hipPrintfStressTest18kernel_complex_opYEPjS0_j, .Lfunc_end5-_ZN19hipPrintfStressTest18kernel_complex_opYEPjS0_j
                                        ; -- End function
	.section	.AMDGPU.csdata,"",@progbits
; Kernel info:
; codeLenInByte = 124
; NumSgprs: 80
; NumVgprs: 59
; NumAgprs: 10
; TotalNumVgprs: 70
; ScratchSize: 16
; MemoryBound: 0
; FloatMode: 240
; IeeeMode: 1
; LDSByteSize: 0 bytes/workgroup (compile time only)
; SGPRBlocks: 9
; VGPRBlocks: 8
; NumSGPRsForWavesPerEU: 80
; NumVGPRsForWavesPerEU: 70
; AccumOffset: 60
; Occupancy: 7
; WaveLimiterHint : 1
; COMPUTE_PGM_RSRC2:SCRATCH_EN: 1
; COMPUTE_PGM_RSRC2:USER_SGPR: 8
; COMPUTE_PGM_RSRC2:TRAP_HANDLER: 0
; COMPUTE_PGM_RSRC2:TGID_X_EN: 1
; COMPUTE_PGM_RSRC2:TGID_Y_EN: 1
; COMPUTE_PGM_RSRC2:TGID_Z_EN: 0
; COMPUTE_PGM_RSRC2:TIDIG_COMP_CNT: 1
; COMPUTE_PGM_RSRC3_GFX90A:ACCUM_OFFSET: 14
; COMPUTE_PGM_RSRC3_GFX90A:TG_SPLIT: 0
	.text
	.protected	_ZN19hipPrintfStressTest18kernel_complex_opZEPjS0_j ; -- Begin function _ZN19hipPrintfStressTest18kernel_complex_opZEPjS0_j
	.globl	_ZN19hipPrintfStressTest18kernel_complex_opZEPjS0_j
	.p2align	8
	.type	_ZN19hipPrintfStressTest18kernel_complex_opZEPjS0_j,@function
_ZN19hipPrintfStressTest18kernel_complex_opZEPjS0_j: ; @_ZN19hipPrintfStressTest18kernel_complex_opZEPjS0_j
; %bb.0:
	s_add_u32 flat_scratch_lo, s6, s10
	s_addc_u32 flat_scratch_hi, s7, 0
	s_load_dword s6, s[4:5], 0x28
	s_load_dwordx4 s[12:15], s[4:5], 0x0
	s_load_dword s7, s[4:5], 0x10
	s_add_u32 s0, s0, s10
	s_addc_u32 s1, s1, 0
	s_waitcnt lgkmcnt(0)
	s_and_b32 s6, s6, 0xffff
	s_mul_i32 s9, s9, s6
	v_bfe_u32 v0, v0, 20, 10
	s_add_u32 s8, s4, 24
	v_add_u32_e32 v0, s9, v0
	s_addc_u32 s9, s5, 0
	v_mov_b32_e32 v1, s7
	v_mov_b32_e32 v2, s12
	;; [unrolled: 1-line block ×5, first 2 shown]
	s_mov_b32 s32, 0
	s_getpc_b64 s[4:5]
	s_add_u32 s4, s4, _ZN19hipPrintfStressTest10startPrintEjjPjS0_@rel32@lo+4
	s_addc_u32 s5, s5, _ZN19hipPrintfStressTest10startPrintEjjPjS0_@rel32@hi+12
	s_swappc_b64 s[30:31], s[4:5]
	s_endpgm
	.section	.rodata,"a",@progbits
	.p2align	6, 0x0
	.amdhsa_kernel _ZN19hipPrintfStressTest18kernel_complex_opZEPjS0_j
		.amdhsa_group_segment_fixed_size 0
		.amdhsa_private_segment_fixed_size 16
		.amdhsa_kernarg_size 280
		.amdhsa_user_sgpr_count 8
		.amdhsa_user_sgpr_private_segment_buffer 1
		.amdhsa_user_sgpr_dispatch_ptr 0
		.amdhsa_user_sgpr_queue_ptr 0
		.amdhsa_user_sgpr_kernarg_segment_ptr 1
		.amdhsa_user_sgpr_dispatch_id 0
		.amdhsa_user_sgpr_flat_scratch_init 1
		.amdhsa_user_sgpr_kernarg_preload_length 0
		.amdhsa_user_sgpr_kernarg_preload_offset 0
		.amdhsa_user_sgpr_private_segment_size 0
		.amdhsa_uses_dynamic_stack 0
		.amdhsa_system_sgpr_private_segment_wavefront_offset 1
		.amdhsa_system_sgpr_workgroup_id_x 1
		.amdhsa_system_sgpr_workgroup_id_y 0
		.amdhsa_system_sgpr_workgroup_id_z 1
		.amdhsa_system_sgpr_workgroup_info 0
		.amdhsa_system_vgpr_workitem_id 2
		.amdhsa_next_free_vgpr 70
		.amdhsa_next_free_sgpr 74
		.amdhsa_accum_offset 60
		.amdhsa_reserve_vcc 1
		.amdhsa_reserve_flat_scratch 1
		.amdhsa_float_round_mode_32 0
		.amdhsa_float_round_mode_16_64 0
		.amdhsa_float_denorm_mode_32 3
		.amdhsa_float_denorm_mode_16_64 3
		.amdhsa_dx10_clamp 1
		.amdhsa_ieee_mode 1
		.amdhsa_fp16_overflow 0
		.amdhsa_tg_split 0
		.amdhsa_exception_fp_ieee_invalid_op 0
		.amdhsa_exception_fp_denorm_src 0
		.amdhsa_exception_fp_ieee_div_zero 0
		.amdhsa_exception_fp_ieee_overflow 0
		.amdhsa_exception_fp_ieee_underflow 0
		.amdhsa_exception_fp_ieee_inexact 0
		.amdhsa_exception_int_div_zero 0
	.end_amdhsa_kernel
	.text
.Lfunc_end6:
	.size	_ZN19hipPrintfStressTest18kernel_complex_opZEPjS0_j, .Lfunc_end6-_ZN19hipPrintfStressTest18kernel_complex_opZEPjS0_j
                                        ; -- End function
	.section	.AMDGPU.csdata,"",@progbits
; Kernel info:
; codeLenInByte = 128
; NumSgprs: 80
; NumVgprs: 59
; NumAgprs: 10
; TotalNumVgprs: 70
; ScratchSize: 16
; MemoryBound: 0
; FloatMode: 240
; IeeeMode: 1
; LDSByteSize: 0 bytes/workgroup (compile time only)
; SGPRBlocks: 9
; VGPRBlocks: 8
; NumSGPRsForWavesPerEU: 80
; NumVGPRsForWavesPerEU: 70
; AccumOffset: 60
; Occupancy: 7
; WaveLimiterHint : 1
; COMPUTE_PGM_RSRC2:SCRATCH_EN: 1
; COMPUTE_PGM_RSRC2:USER_SGPR: 8
; COMPUTE_PGM_RSRC2:TRAP_HANDLER: 0
; COMPUTE_PGM_RSRC2:TGID_X_EN: 1
; COMPUTE_PGM_RSRC2:TGID_Y_EN: 0
; COMPUTE_PGM_RSRC2:TGID_Z_EN: 1
; COMPUTE_PGM_RSRC2:TIDIG_COMP_CNT: 2
; COMPUTE_PGM_RSRC3_GFX90A:ACCUM_OFFSET: 14
; COMPUTE_PGM_RSRC3_GFX90A:TG_SPLIT: 0
	.text
	.p2alignl 6, 3212836864
	.fill 256, 4, 3212836864
	.type	.str,@object                    ; @.str
	.section	.rodata.str1.1,"aMS",@progbits,1
.str:
	.asciz	"tid %u: Value of result=%u or %x\n"
	.size	.str, 34

	.type	.str.1,@object                  ; @.str.1
.str.1:
	.asciz	"tid %u: Value of result=%u or %x \n"
	.size	.str.1, 35

	.type	.str.2,@object                  ; @.str.2
.str.2:
	.asciz	"tid %u: Value of result=%d or %x\n"
	.size	.str.2, 34

	.type	.str.3,@object                  ; @.str.3
.str.3:
	.asciz	"tid %u: Value of result[%d] = %.2f or %.2e\n"
	.size	.str.3, 44

	.type	.str.4,@object                  ; @.str.4
.str.4:
	.asciz	"tid %u: Value of result[%d] = %.4f or %.4e \n"
	.size	.str.4, 45

	.type	.str.5,@object                  ; @.str.5
.str.5:
	.asciz	"tid %u: Value of result[%d] = %.6f or %.6e \n"
	.size	.str.5, 45

	.type	.str.6,@object                  ; @.str.6
.str.6:
	.asciz	"jhwehde2hl"
	.size	.str.6, 11

	.type	.str.7,@object                  ; @.str.7
.str.7:
	.asciz	"jhwehde2hlmc,prmlsl4"
	.size	.str.7, 21

	.type	.str.8,@object                  ; @.str.8
.str.8:
	.asciz	"xkdojdewnd34dMMnl2o4AAdeBEjbX0"
	.size	.str.8, 31

	.type	.str.9,@object                  ; @.str.9
.str.9:
	.asciz	"mcropkaA234dmelmfhja44ndalomkfokdMDFK328"
	.size	.str.9, 41

	.type	.str.10,@object                 ; @.str.10
.str.10:
	.asciz	"udnekc8939MDkdnjj3knsdlmnekdlgJNls328419i905409dfm"
	.size	.str.10, 51

	.type	.str.11,@object                 ; @.str.11
.str.11:
	.asciz	"lfjweknm4349u34sdlk09j3mAADDSDkeffe575675fdvfLKMWMORMFREKLkl"
	.size	.str.11, 61

	.type	.str.12,@object                 ; @.str.12
.str.12:
	.asciz	"tid %u: %s imod = %d \n"
	.size	.str.12, 23

	.type	.str.13,@object                 ; @.str.13
.str.13:
	.asciz	"jheku83290dnmnd##9u9BJKHFJLKsMMMMdkejwejjj232indnfdmsnndnsdn****bsXxZz"
	.size	.str.13, 71

	.type	.str.14,@object                 ; @.str.14
.str.14:
	.asciz	"%s,%d,%s,%u,%s,%x,%s,%f,%s,%e\n"
	.size	.str.14, 31

	.type	.str.15,@object                 ; @.str.15
.str.15:
	.asciz	"%f, %f, %e, %e \n"
	.size	.str.15, 17

	.type	.str.16,@object                 ; @.str.16
.str.16:
	.asciz	"%a, %a, %A, %A \n"
	.size	.str.16, 17

	.type	.str.17,@object                 ; @.str.17
.str.17:
	.asciz	"%zu, %zu, %lli, %lli, %llu, %llu, %li, %li, %lu, %lu\n"
	.size	.str.17, 54

	.type	.str.18,@object                 ; @.str.18
.str.18:
	.asciz	"%zx, %zx, %llx, %llx, %llx, %llx, %lx, %lx, %lx, %lx\n"
	.size	.str.18, 54

	.type	.str.19,@object                 ; @.str.19
.str.19:
	.asciz	"%zX, %zX, %llX, %llX, %llX, %llX, %lX, %lX, %lX, %lX\n"
	.size	.str.19, 54

	.type	.str.20,@object                 ; @.str.20
.str.20:
	.asciz	"%zo, %zo, %llo, %llo, %llo, %llo, %lo, %lo, %lo, %lo\n"
	.size	.str.20, 54

	.type	.str.21,@object                 ; @.str.21
.str.21:
	.asciz	"%hd, %hd, %hu, %hu, %hhd, %hhd, %hhu, %hhu, %d, %d, %u, %u\n"
	.size	.str.21, 60

	.type	.str.22,@object                 ; @.str.22
.str.22:
	.asciz	"%hx, %hx, %hx, %hx, %hhx, %hhx, %hhx, %hhx, %x, %x, %x, %x\n"
	.size	.str.22, 60

	.type	.str.23,@object                 ; @.str.23
.str.23:
	.asciz	"%hX, %hX, %hX, %hX, %hhX, %hhX, %hhX, %hhX, %X, %X, %X, %X\n"
	.size	.str.23, 60

	.type	.str.24,@object                 ; @.str.24
.str.24:
	.asciz	"%ho, %ho, %ho, %ho, %hho, %hho, %hho, %hho, %o, %o, %o, %o\n"
	.size	.str.24, 60

	.type	.str.25,@object                 ; @.str.25
.str.25:
	.asciz	"%c, %c, %c, %c\n"
	.size	.str.25, 16

	.type	__hip_cuid_4abece95d39f291f,@object ; @__hip_cuid_4abece95d39f291f
	.section	.bss,"aw",@nobits
	.globl	__hip_cuid_4abece95d39f291f
__hip_cuid_4abece95d39f291f:
	.byte	0                               ; 0x0
	.size	__hip_cuid_4abece95d39f291f, 1

	.ident	"AMD clang version 19.0.0git (https://github.com/RadeonOpenCompute/llvm-project roc-6.4.0 25133 c7fe45cf4b819c5991fe208aaa96edf142730f1d)"
	.section	".note.GNU-stack","",@progbits
	.addrsig
	.addrsig_sym __hip_cuid_4abece95d39f291f
	.amdgpu_metadata
---
amdhsa.kernels:
  - .agpr_count:     10
    .args:
      - .address_space:  global
        .offset:         0
        .size:           8
        .value_kind:     global_buffer
      - .address_space:  global
        .offset:         8
        .size:           8
        .value_kind:     global_buffer
      - .offset:         16
        .size:           4
        .value_kind:     by_value
      - .offset:         24
        .size:           4
        .value_kind:     hidden_block_count_x
      - .offset:         28
        .size:           4
        .value_kind:     hidden_block_count_y
      - .offset:         32
        .size:           4
        .value_kind:     hidden_block_count_z
      - .offset:         36
        .size:           2
        .value_kind:     hidden_group_size_x
      - .offset:         38
        .size:           2
        .value_kind:     hidden_group_size_y
      - .offset:         40
        .size:           2
        .value_kind:     hidden_group_size_z
      - .offset:         42
        .size:           2
        .value_kind:     hidden_remainder_x
      - .offset:         44
        .size:           2
        .value_kind:     hidden_remainder_y
      - .offset:         46
        .size:           2
        .value_kind:     hidden_remainder_z
      - .offset:         64
        .size:           8
        .value_kind:     hidden_global_offset_x
      - .offset:         72
        .size:           8
        .value_kind:     hidden_global_offset_y
      - .offset:         80
        .size:           8
        .value_kind:     hidden_global_offset_z
      - .offset:         88
        .size:           2
        .value_kind:     hidden_grid_dims
      - .offset:         104
        .size:           8
        .value_kind:     hidden_hostcall_buffer
    .group_segment_fixed_size: 0
    .kernarg_segment_align: 8
    .kernarg_segment_size: 280
    .language:       OpenCL C
    .language_version:
      - 2
      - 0
    .max_flat_workgroup_size: 1024
    .name:           _ZN19hipPrintfStressTest18kernel_complex_opXEPjS0_j
    .private_segment_fixed_size: 16
    .sgpr_count:     80
    .sgpr_spill_count: 0
    .symbol:         _ZN19hipPrintfStressTest18kernel_complex_opXEPjS0_j.kd
    .uniform_work_group_size: 1
    .uses_dynamic_stack: false
    .vgpr_count:     70
    .vgpr_spill_count: 0
    .wavefront_size: 64
  - .agpr_count:     10
    .args:
      - .address_space:  global
        .offset:         0
        .size:           8
        .value_kind:     global_buffer
      - .address_space:  global
        .offset:         8
        .size:           8
        .value_kind:     global_buffer
      - .offset:         16
        .size:           4
        .value_kind:     by_value
      - .offset:         24
        .size:           4
        .value_kind:     hidden_block_count_x
      - .offset:         28
        .size:           4
        .value_kind:     hidden_block_count_y
      - .offset:         32
        .size:           4
        .value_kind:     hidden_block_count_z
      - .offset:         36
        .size:           2
        .value_kind:     hidden_group_size_x
      - .offset:         38
        .size:           2
        .value_kind:     hidden_group_size_y
      - .offset:         40
        .size:           2
        .value_kind:     hidden_group_size_z
      - .offset:         42
        .size:           2
        .value_kind:     hidden_remainder_x
      - .offset:         44
        .size:           2
        .value_kind:     hidden_remainder_y
      - .offset:         46
        .size:           2
        .value_kind:     hidden_remainder_z
      - .offset:         64
        .size:           8
        .value_kind:     hidden_global_offset_x
      - .offset:         72
        .size:           8
        .value_kind:     hidden_global_offset_y
      - .offset:         80
        .size:           8
        .value_kind:     hidden_global_offset_z
      - .offset:         88
        .size:           2
        .value_kind:     hidden_grid_dims
      - .offset:         104
        .size:           8
        .value_kind:     hidden_hostcall_buffer
    .group_segment_fixed_size: 0
    .kernarg_segment_align: 8
    .kernarg_segment_size: 280
    .language:       OpenCL C
    .language_version:
      - 2
      - 0
    .max_flat_workgroup_size: 1024
    .name:           _ZN19hipPrintfStressTest18kernel_complex_opYEPjS0_j
    .private_segment_fixed_size: 16
    .sgpr_count:     80
    .sgpr_spill_count: 0
    .symbol:         _ZN19hipPrintfStressTest18kernel_complex_opYEPjS0_j.kd
    .uniform_work_group_size: 1
    .uses_dynamic_stack: false
    .vgpr_count:     70
    .vgpr_spill_count: 0
    .wavefront_size: 64
  - .agpr_count:     10
    .args:
      - .address_space:  global
        .offset:         0
        .size:           8
        .value_kind:     global_buffer
      - .address_space:  global
        .offset:         8
        .size:           8
        .value_kind:     global_buffer
      - .offset:         16
        .size:           4
        .value_kind:     by_value
      - .offset:         24
        .size:           4
        .value_kind:     hidden_block_count_x
      - .offset:         28
        .size:           4
        .value_kind:     hidden_block_count_y
      - .offset:         32
        .size:           4
        .value_kind:     hidden_block_count_z
      - .offset:         36
        .size:           2
        .value_kind:     hidden_group_size_x
      - .offset:         38
        .size:           2
        .value_kind:     hidden_group_size_y
      - .offset:         40
        .size:           2
        .value_kind:     hidden_group_size_z
      - .offset:         42
        .size:           2
        .value_kind:     hidden_remainder_x
      - .offset:         44
        .size:           2
        .value_kind:     hidden_remainder_y
      - .offset:         46
        .size:           2
        .value_kind:     hidden_remainder_z
      - .offset:         64
        .size:           8
        .value_kind:     hidden_global_offset_x
      - .offset:         72
        .size:           8
        .value_kind:     hidden_global_offset_y
      - .offset:         80
        .size:           8
        .value_kind:     hidden_global_offset_z
      - .offset:         88
        .size:           2
        .value_kind:     hidden_grid_dims
      - .offset:         104
        .size:           8
        .value_kind:     hidden_hostcall_buffer
    .group_segment_fixed_size: 0
    .kernarg_segment_align: 8
    .kernarg_segment_size: 280
    .language:       OpenCL C
    .language_version:
      - 2
      - 0
    .max_flat_workgroup_size: 1024
    .name:           _ZN19hipPrintfStressTest18kernel_complex_opZEPjS0_j
    .private_segment_fixed_size: 16
    .sgpr_count:     80
    .sgpr_spill_count: 0
    .symbol:         _ZN19hipPrintfStressTest18kernel_complex_opZEPjS0_j.kd
    .uniform_work_group_size: 1
    .uses_dynamic_stack: false
    .vgpr_count:     70
    .vgpr_spill_count: 0
    .wavefront_size: 64
amdhsa.target:   amdgcn-amd-amdhsa--gfx90a
amdhsa.version:
  - 1
  - 2
...

	.end_amdgpu_metadata
